;; amdgpu-corpus repo=ROCm/rocFFT kind=compiled arch=gfx1100 opt=O3
	.text
	.amdgcn_target "amdgcn-amd-amdhsa--gfx1100"
	.amdhsa_code_object_version 6
	.protected	fft_rtc_fwd_len338_factors_13_2_13_wgs_52_tpt_26_halfLds_dp_op_CI_CI_unitstride_sbrr_dirReg ; -- Begin function fft_rtc_fwd_len338_factors_13_2_13_wgs_52_tpt_26_halfLds_dp_op_CI_CI_unitstride_sbrr_dirReg
	.globl	fft_rtc_fwd_len338_factors_13_2_13_wgs_52_tpt_26_halfLds_dp_op_CI_CI_unitstride_sbrr_dirReg
	.p2align	8
	.type	fft_rtc_fwd_len338_factors_13_2_13_wgs_52_tpt_26_halfLds_dp_op_CI_CI_unitstride_sbrr_dirReg,@function
fft_rtc_fwd_len338_factors_13_2_13_wgs_52_tpt_26_halfLds_dp_op_CI_CI_unitstride_sbrr_dirReg: ; @fft_rtc_fwd_len338_factors_13_2_13_wgs_52_tpt_26_halfLds_dp_op_CI_CI_unitstride_sbrr_dirReg
; %bb.0:
	s_clause 0x2
	s_load_b128 s[8:11], s[0:1], 0x0
	s_load_b128 s[4:7], s[0:1], 0x58
	;; [unrolled: 1-line block ×3, first 2 shown]
	v_mul_u32_u24_e32 v1, 0x9d9, v0
	v_mov_b32_e32 v4, 0
	v_mov_b32_e32 v5, 0
	s_delay_alu instid0(VALU_DEP_3) | instskip(SKIP_1) | instid1(VALU_DEP_2)
	v_lshrrev_b32_e32 v54, 16, v1
	v_mov_b32_e32 v1, 0
	v_lshl_add_u32 v6, s15, 1, v54
	s_delay_alu instid0(VALU_DEP_2) | instskip(SKIP_2) | instid1(VALU_DEP_1)
	v_mov_b32_e32 v7, v1
	s_waitcnt lgkmcnt(0)
	v_cmp_lt_u64_e64 s2, s[10:11], 2
	s_and_b32 vcc_lo, exec_lo, s2
	s_cbranch_vccnz .LBB0_8
; %bb.1:
	s_load_b64 s[2:3], s[0:1], 0x10
	v_mov_b32_e32 v4, 0
	v_mov_b32_e32 v5, 0
	s_add_u32 s12, s18, 8
	s_addc_u32 s13, s19, 0
	s_add_u32 s14, s16, 8
	s_addc_u32 s15, s17, 0
	v_dual_mov_b32 v77, v5 :: v_dual_mov_b32 v76, v4
	s_mov_b64 s[22:23], 1
	s_waitcnt lgkmcnt(0)
	s_add_u32 s20, s2, 8
	s_addc_u32 s21, s3, 0
.LBB0_2:                                ; =>This Inner Loop Header: Depth=1
	s_load_b64 s[24:25], s[20:21], 0x0
                                        ; implicit-def: $vgpr78_vgpr79
	s_mov_b32 s2, exec_lo
	s_waitcnt lgkmcnt(0)
	v_or_b32_e32 v2, s25, v7
	s_delay_alu instid0(VALU_DEP_1)
	v_cmpx_ne_u64_e32 0, v[1:2]
	s_xor_b32 s3, exec_lo, s2
	s_cbranch_execz .LBB0_4
; %bb.3:                                ;   in Loop: Header=BB0_2 Depth=1
	v_cvt_f32_u32_e32 v2, s24
	v_cvt_f32_u32_e32 v3, s25
	s_sub_u32 s2, 0, s24
	s_subb_u32 s26, 0, s25
	s_delay_alu instid0(VALU_DEP_1) | instskip(NEXT) | instid1(VALU_DEP_1)
	v_fmac_f32_e32 v2, 0x4f800000, v3
	v_rcp_f32_e32 v2, v2
	s_waitcnt_depctr 0xfff
	v_mul_f32_e32 v2, 0x5f7ffffc, v2
	s_delay_alu instid0(VALU_DEP_1) | instskip(NEXT) | instid1(VALU_DEP_1)
	v_mul_f32_e32 v3, 0x2f800000, v2
	v_trunc_f32_e32 v3, v3
	s_delay_alu instid0(VALU_DEP_1) | instskip(SKIP_1) | instid1(VALU_DEP_2)
	v_fmac_f32_e32 v2, 0xcf800000, v3
	v_cvt_u32_f32_e32 v3, v3
	v_cvt_u32_f32_e32 v2, v2
	s_delay_alu instid0(VALU_DEP_2) | instskip(NEXT) | instid1(VALU_DEP_2)
	v_mul_lo_u32 v8, s2, v3
	v_mul_hi_u32 v9, s2, v2
	v_mul_lo_u32 v10, s26, v2
	s_delay_alu instid0(VALU_DEP_2) | instskip(SKIP_1) | instid1(VALU_DEP_2)
	v_add_nc_u32_e32 v8, v9, v8
	v_mul_lo_u32 v9, s2, v2
	v_add_nc_u32_e32 v8, v8, v10
	s_delay_alu instid0(VALU_DEP_2) | instskip(NEXT) | instid1(VALU_DEP_2)
	v_mul_hi_u32 v10, v2, v9
	v_mul_lo_u32 v11, v2, v8
	v_mul_hi_u32 v12, v2, v8
	v_mul_hi_u32 v13, v3, v9
	v_mul_lo_u32 v9, v3, v9
	v_mul_hi_u32 v14, v3, v8
	v_mul_lo_u32 v8, v3, v8
	v_add_co_u32 v10, vcc_lo, v10, v11
	v_add_co_ci_u32_e32 v11, vcc_lo, 0, v12, vcc_lo
	s_delay_alu instid0(VALU_DEP_2) | instskip(NEXT) | instid1(VALU_DEP_2)
	v_add_co_u32 v9, vcc_lo, v10, v9
	v_add_co_ci_u32_e32 v9, vcc_lo, v11, v13, vcc_lo
	v_add_co_ci_u32_e32 v10, vcc_lo, 0, v14, vcc_lo
	s_delay_alu instid0(VALU_DEP_2) | instskip(NEXT) | instid1(VALU_DEP_2)
	v_add_co_u32 v8, vcc_lo, v9, v8
	v_add_co_ci_u32_e32 v9, vcc_lo, 0, v10, vcc_lo
	s_delay_alu instid0(VALU_DEP_2) | instskip(NEXT) | instid1(VALU_DEP_2)
	v_add_co_u32 v2, vcc_lo, v2, v8
	v_add_co_ci_u32_e32 v3, vcc_lo, v3, v9, vcc_lo
	s_delay_alu instid0(VALU_DEP_2) | instskip(SKIP_1) | instid1(VALU_DEP_3)
	v_mul_hi_u32 v8, s2, v2
	v_mul_lo_u32 v10, s26, v2
	v_mul_lo_u32 v9, s2, v3
	s_delay_alu instid0(VALU_DEP_1) | instskip(SKIP_1) | instid1(VALU_DEP_2)
	v_add_nc_u32_e32 v8, v8, v9
	v_mul_lo_u32 v9, s2, v2
	v_add_nc_u32_e32 v8, v8, v10
	s_delay_alu instid0(VALU_DEP_2) | instskip(NEXT) | instid1(VALU_DEP_2)
	v_mul_hi_u32 v10, v2, v9
	v_mul_lo_u32 v11, v2, v8
	v_mul_hi_u32 v12, v2, v8
	v_mul_hi_u32 v13, v3, v9
	v_mul_lo_u32 v9, v3, v9
	v_mul_hi_u32 v14, v3, v8
	v_mul_lo_u32 v8, v3, v8
	v_add_co_u32 v10, vcc_lo, v10, v11
	v_add_co_ci_u32_e32 v11, vcc_lo, 0, v12, vcc_lo
	s_delay_alu instid0(VALU_DEP_2) | instskip(NEXT) | instid1(VALU_DEP_2)
	v_add_co_u32 v9, vcc_lo, v10, v9
	v_add_co_ci_u32_e32 v9, vcc_lo, v11, v13, vcc_lo
	v_add_co_ci_u32_e32 v10, vcc_lo, 0, v14, vcc_lo
	s_delay_alu instid0(VALU_DEP_2) | instskip(NEXT) | instid1(VALU_DEP_2)
	v_add_co_u32 v8, vcc_lo, v9, v8
	v_add_co_ci_u32_e32 v9, vcc_lo, 0, v10, vcc_lo
	s_delay_alu instid0(VALU_DEP_2) | instskip(NEXT) | instid1(VALU_DEP_2)
	v_add_co_u32 v10, vcc_lo, v2, v8
	v_add_co_ci_u32_e32 v12, vcc_lo, v3, v9, vcc_lo
	s_delay_alu instid0(VALU_DEP_2) | instskip(SKIP_1) | instid1(VALU_DEP_3)
	v_mul_hi_u32 v13, v6, v10
	v_mad_u64_u32 v[8:9], null, v7, v10, 0
	v_mad_u64_u32 v[2:3], null, v6, v12, 0
	;; [unrolled: 1-line block ×3, first 2 shown]
	s_delay_alu instid0(VALU_DEP_2) | instskip(NEXT) | instid1(VALU_DEP_3)
	v_add_co_u32 v2, vcc_lo, v13, v2
	v_add_co_ci_u32_e32 v3, vcc_lo, 0, v3, vcc_lo
	s_delay_alu instid0(VALU_DEP_2) | instskip(NEXT) | instid1(VALU_DEP_2)
	v_add_co_u32 v2, vcc_lo, v2, v8
	v_add_co_ci_u32_e32 v2, vcc_lo, v3, v9, vcc_lo
	v_add_co_ci_u32_e32 v3, vcc_lo, 0, v11, vcc_lo
	s_delay_alu instid0(VALU_DEP_2) | instskip(NEXT) | instid1(VALU_DEP_2)
	v_add_co_u32 v8, vcc_lo, v2, v10
	v_add_co_ci_u32_e32 v9, vcc_lo, 0, v3, vcc_lo
	s_delay_alu instid0(VALU_DEP_2) | instskip(SKIP_1) | instid1(VALU_DEP_3)
	v_mul_lo_u32 v10, s25, v8
	v_mad_u64_u32 v[2:3], null, s24, v8, 0
	v_mul_lo_u32 v11, s24, v9
	s_delay_alu instid0(VALU_DEP_2) | instskip(NEXT) | instid1(VALU_DEP_2)
	v_sub_co_u32 v2, vcc_lo, v6, v2
	v_add3_u32 v3, v3, v11, v10
	s_delay_alu instid0(VALU_DEP_1) | instskip(NEXT) | instid1(VALU_DEP_1)
	v_sub_nc_u32_e32 v10, v7, v3
	v_subrev_co_ci_u32_e64 v10, s2, s25, v10, vcc_lo
	v_add_co_u32 v11, s2, v8, 2
	s_delay_alu instid0(VALU_DEP_1) | instskip(SKIP_3) | instid1(VALU_DEP_3)
	v_add_co_ci_u32_e64 v12, s2, 0, v9, s2
	v_sub_co_u32 v13, s2, v2, s24
	v_sub_co_ci_u32_e32 v3, vcc_lo, v7, v3, vcc_lo
	v_subrev_co_ci_u32_e64 v10, s2, 0, v10, s2
	v_cmp_le_u32_e32 vcc_lo, s24, v13
	s_delay_alu instid0(VALU_DEP_3) | instskip(SKIP_1) | instid1(VALU_DEP_4)
	v_cmp_eq_u32_e64 s2, s25, v3
	v_cndmask_b32_e64 v13, 0, -1, vcc_lo
	v_cmp_le_u32_e32 vcc_lo, s25, v10
	v_cndmask_b32_e64 v14, 0, -1, vcc_lo
	v_cmp_le_u32_e32 vcc_lo, s24, v2
	;; [unrolled: 2-line block ×3, first 2 shown]
	v_cndmask_b32_e64 v15, 0, -1, vcc_lo
	v_cmp_eq_u32_e32 vcc_lo, s25, v10
	s_delay_alu instid0(VALU_DEP_2) | instskip(SKIP_3) | instid1(VALU_DEP_3)
	v_cndmask_b32_e64 v2, v15, v2, s2
	v_cndmask_b32_e32 v10, v14, v13, vcc_lo
	v_add_co_u32 v13, vcc_lo, v8, 1
	v_add_co_ci_u32_e32 v14, vcc_lo, 0, v9, vcc_lo
	v_cmp_ne_u32_e32 vcc_lo, 0, v10
	s_delay_alu instid0(VALU_DEP_2) | instskip(SKIP_1) | instid1(VALU_DEP_2)
	v_dual_cndmask_b32 v3, v14, v12 :: v_dual_cndmask_b32 v10, v13, v11
	v_cmp_ne_u32_e32 vcc_lo, 0, v2
	v_dual_cndmask_b32 v79, v9, v3 :: v_dual_cndmask_b32 v78, v8, v10
.LBB0_4:                                ;   in Loop: Header=BB0_2 Depth=1
	s_and_not1_saveexec_b32 s2, s3
	s_cbranch_execz .LBB0_6
; %bb.5:                                ;   in Loop: Header=BB0_2 Depth=1
	v_cvt_f32_u32_e32 v2, s24
	s_sub_i32 s3, 0, s24
	v_mov_b32_e32 v79, v1
	s_delay_alu instid0(VALU_DEP_2) | instskip(SKIP_2) | instid1(VALU_DEP_1)
	v_rcp_iflag_f32_e32 v2, v2
	s_waitcnt_depctr 0xfff
	v_mul_f32_e32 v2, 0x4f7ffffe, v2
	v_cvt_u32_f32_e32 v2, v2
	s_delay_alu instid0(VALU_DEP_1) | instskip(NEXT) | instid1(VALU_DEP_1)
	v_mul_lo_u32 v3, s3, v2
	v_mul_hi_u32 v3, v2, v3
	s_delay_alu instid0(VALU_DEP_1) | instskip(NEXT) | instid1(VALU_DEP_1)
	v_add_nc_u32_e32 v2, v2, v3
	v_mul_hi_u32 v2, v6, v2
	s_delay_alu instid0(VALU_DEP_1) | instskip(SKIP_1) | instid1(VALU_DEP_2)
	v_mul_lo_u32 v3, v2, s24
	v_add_nc_u32_e32 v8, 1, v2
	v_sub_nc_u32_e32 v3, v6, v3
	s_delay_alu instid0(VALU_DEP_1) | instskip(SKIP_1) | instid1(VALU_DEP_2)
	v_subrev_nc_u32_e32 v9, s24, v3
	v_cmp_le_u32_e32 vcc_lo, s24, v3
	v_dual_cndmask_b32 v3, v3, v9 :: v_dual_cndmask_b32 v2, v2, v8
	s_delay_alu instid0(VALU_DEP_1) | instskip(NEXT) | instid1(VALU_DEP_2)
	v_cmp_le_u32_e32 vcc_lo, s24, v3
	v_add_nc_u32_e32 v8, 1, v2
	s_delay_alu instid0(VALU_DEP_1)
	v_cndmask_b32_e32 v78, v2, v8, vcc_lo
.LBB0_6:                                ;   in Loop: Header=BB0_2 Depth=1
	s_or_b32 exec_lo, exec_lo, s2
	s_delay_alu instid0(VALU_DEP_1) | instskip(NEXT) | instid1(VALU_DEP_2)
	v_mul_lo_u32 v8, v79, s24
	v_mul_lo_u32 v9, v78, s25
	s_load_b64 s[2:3], s[14:15], 0x0
	v_mad_u64_u32 v[2:3], null, v78, s24, 0
	s_load_b64 s[24:25], s[12:13], 0x0
	s_add_u32 s22, s22, 1
	s_addc_u32 s23, s23, 0
	s_add_u32 s12, s12, 8
	s_addc_u32 s13, s13, 0
	s_add_u32 s14, s14, 8
	s_delay_alu instid0(VALU_DEP_1) | instskip(SKIP_3) | instid1(VALU_DEP_2)
	v_add3_u32 v3, v3, v9, v8
	v_sub_co_u32 v8, vcc_lo, v6, v2
	s_addc_u32 s15, s15, 0
	s_add_u32 s20, s20, 8
	v_sub_co_ci_u32_e32 v6, vcc_lo, v7, v3, vcc_lo
	s_addc_u32 s21, s21, 0
	s_waitcnt lgkmcnt(0)
	s_delay_alu instid0(VALU_DEP_1)
	v_mul_lo_u32 v9, s2, v6
	v_mul_lo_u32 v10, s3, v8
	v_mad_u64_u32 v[2:3], null, s2, v8, v[4:5]
	v_mul_lo_u32 v11, s24, v6
	v_mul_lo_u32 v12, s25, v8
	v_mad_u64_u32 v[6:7], null, s24, v8, v[76:77]
	v_cmp_ge_u64_e64 s2, s[22:23], s[10:11]
	v_add3_u32 v5, v10, v3, v9
	v_mov_b32_e32 v4, v2
	s_delay_alu instid0(VALU_DEP_4)
	v_add3_u32 v77, v12, v7, v11
	v_mov_b32_e32 v76, v6
	s_and_b32 vcc_lo, exec_lo, s2
	s_cbranch_vccnz .LBB0_9
; %bb.7:                                ;   in Loop: Header=BB0_2 Depth=1
	v_dual_mov_b32 v6, v78 :: v_dual_mov_b32 v7, v79
	s_branch .LBB0_2
.LBB0_8:
	v_dual_mov_b32 v77, v5 :: v_dual_mov_b32 v76, v4
	v_dual_mov_b32 v79, v7 :: v_dual_mov_b32 v78, v6
.LBB0_9:
	s_load_b64 s[0:1], s[0:1], 0x28
	v_mul_hi_u32 v1, 0x9d89d8a, v0
	s_lshl_b64 s[10:11], s[10:11], 3
                                        ; implicit-def: $sgpr12_sgpr13
                                        ; implicit-def: $vgpr82
	s_delay_alu instid0(SALU_CYCLE_1) | instskip(SKIP_4) | instid1(VALU_DEP_1)
	s_add_u32 s2, s18, s10
	s_addc_u32 s3, s19, s11
	s_waitcnt lgkmcnt(0)
	v_cmp_gt_u64_e32 vcc_lo, s[0:1], v[78:79]
	v_cmp_le_u64_e64 s0, s[0:1], v[78:79]
	s_and_saveexec_b32 s1, s0
	s_delay_alu instid0(SALU_CYCLE_1)
	s_xor_b32 s0, exec_lo, s1
; %bb.10:
	v_mul_u32_u24_e32 v1, 26, v1
	s_mov_b64 s[12:13], 0
                                        ; implicit-def: $vgpr4_vgpr5
	s_delay_alu instid0(VALU_DEP_1)
	v_sub_nc_u32_e32 v82, v0, v1
                                        ; implicit-def: $vgpr1
                                        ; implicit-def: $vgpr0
; %bb.11:
	s_or_saveexec_b32 s1, s0
	v_dual_mov_b32 v81, s13 :: v_dual_mov_b32 v80, s12
                                        ; implicit-def: $vgpr2_vgpr3
                                        ; implicit-def: $vgpr6_vgpr7
                                        ; implicit-def: $vgpr10_vgpr11
                                        ; implicit-def: $vgpr22_vgpr23
                                        ; implicit-def: $vgpr38_vgpr39
                                        ; implicit-def: $vgpr18_vgpr19
                                        ; implicit-def: $vgpr14_vgpr15
                                        ; implicit-def: $vgpr26_vgpr27
                                        ; implicit-def: $vgpr34_vgpr35
                                        ; implicit-def: $vgpr42_vgpr43
                                        ; implicit-def: $vgpr46_vgpr47
                                        ; implicit-def: $vgpr50_vgpr51
                                        ; implicit-def: $vgpr30_vgpr31
	s_xor_b32 exec_lo, exec_lo, s1
	s_cbranch_execz .LBB0_13
; %bb.12:
	s_add_u32 s10, s16, s10
	s_addc_u32 s11, s17, s11
	v_mov_b32_e32 v83, 0
	s_load_b64 s[10:11], s[10:11], 0x0
	s_waitcnt lgkmcnt(0)
	v_mul_lo_u32 v6, s11, v78
	v_mul_lo_u32 v7, s10, v79
	v_mad_u64_u32 v[2:3], null, s10, v78, 0
	s_delay_alu instid0(VALU_DEP_1) | instskip(SKIP_1) | instid1(VALU_DEP_2)
	v_add3_u32 v3, v3, v7, v6
	v_mul_u32_u24_e32 v6, 26, v1
	v_lshlrev_b64 v[1:2], 4, v[2:3]
	v_lshlrev_b64 v[3:4], 4, v[4:5]
	s_delay_alu instid0(VALU_DEP_3) | instskip(NEXT) | instid1(VALU_DEP_3)
	v_sub_nc_u32_e32 v82, v0, v6
	v_add_co_u32 v0, s0, s4, v1
	s_delay_alu instid0(VALU_DEP_1) | instskip(NEXT) | instid1(VALU_DEP_3)
	v_add_co_ci_u32_e64 v1, s0, s5, v2, s0
	v_lshlrev_b32_e32 v2, 4, v82
	s_delay_alu instid0(VALU_DEP_3) | instskip(NEXT) | instid1(VALU_DEP_1)
	v_add_co_u32 v0, s0, v0, v3
	v_add_co_ci_u32_e64 v1, s0, v1, v4, s0
	v_dual_mov_b32 v80, v82 :: v_dual_mov_b32 v81, v83
	s_delay_alu instid0(VALU_DEP_3) | instskip(NEXT) | instid1(VALU_DEP_1)
	v_add_co_u32 v0, s0, v0, v2
	v_add_co_ci_u32_e64 v1, s0, 0, v1, s0
	s_clause 0x5
	global_load_b128 v[28:31], v[0:1], off
	global_load_b128 v[48:51], v[0:1], off offset:416
	global_load_b128 v[44:47], v[0:1], off offset:832
	global_load_b128 v[40:43], v[0:1], off offset:1248
	global_load_b128 v[32:35], v[0:1], off offset:1664
	global_load_b128 v[24:27], v[0:1], off offset:2080
	v_add_co_u32 v2, s0, 0x1000, v0
	s_delay_alu instid0(VALU_DEP_1)
	v_add_co_ci_u32_e64 v3, s0, 0, v1, s0
	s_clause 0x6
	global_load_b128 v[12:15], v[0:1], off offset:2496
	global_load_b128 v[16:19], v[0:1], off offset:2912
	global_load_b128 v[36:39], v[0:1], off offset:3328
	global_load_b128 v[20:23], v[0:1], off offset:3744
	global_load_b128 v[8:11], v[2:3], off offset:64
	global_load_b128 v[4:7], v[2:3], off offset:480
	global_load_b128 v[0:3], v[2:3], off offset:896
.LBB0_13:
	s_or_b32 exec_lo, exec_lo, s1
	s_waitcnt vmcnt(11)
	v_add_f64 v[52:53], v[48:49], v[28:29]
	s_waitcnt vmcnt(0)
	v_add_f64 v[55:56], v[0:1], v[48:49]
	s_mov_b32 s14, 0xe00740e9
	s_mov_b32 s10, 0x1ea71119
	;; [unrolled: 1-line block ×10, first 2 shown]
	v_add_f64 v[57:58], v[50:51], -v[2:3]
	v_add_f64 v[59:60], v[4:5], v[44:45]
	s_mov_b32 s4, 0xebaa3ed8
	s_mov_b32 s5, 0x3fbedb7d
	;; [unrolled: 1-line block ×20, first 2 shown]
	v_add_f64 v[71:72], v[8:9], v[40:41]
	s_mov_b32 s29, 0xbfe5384d
	v_add_f64 v[73:74], v[46:47], -v[6:7]
	s_mov_b32 s44, s26
	v_add_f64 v[52:53], v[44:45], v[52:53]
	v_mul_f64 v[61:62], v[55:56], s[14:15]
	v_mul_f64 v[63:64], v[55:56], s[10:11]
	;; [unrolled: 1-line block ×6, first 2 shown]
	s_mov_b32 s28, s40
	s_mov_b32 s21, 0x3fefc445
	;; [unrolled: 1-line block ×4, first 2 shown]
	v_add_f64 v[105:106], v[20:21], v[32:33]
	s_load_b64 s[2:3], s[2:3], 0x0
	v_mul_f64 v[83:84], v[59:60], s[10:11]
	v_mul_f64 v[85:86], v[59:60], s[12:13]
	;; [unrolled: 1-line block ×10, first 2 shown]
	v_add_f64 v[52:53], v[40:41], v[52:53]
	v_fma_f64 v[93:94], v[57:58], s[26:27], v[61:62]
	v_fma_f64 v[95:96], v[57:58], s[34:35], v[63:64]
	;; [unrolled: 1-line block ×12, first 2 shown]
	v_add_f64 v[57:58], v[42:43], -v[10:11]
	v_mul_f64 v[115:116], v[71:72], s[10:11]
	v_mul_f64 v[71:72], v[71:72], s[16:17]
	v_fma_f64 v[117:118], v[73:74], s[24:25], v[83:84]
	v_fma_f64 v[83:84], v[73:74], s[34:35], v[83:84]
	;; [unrolled: 1-line block ×12, first 2 shown]
	v_mul_f64 v[129:130], v[105:106], s[12:13]
	v_mul_f64 v[131:132], v[105:106], s[16:17]
	;; [unrolled: 1-line block ×6, first 2 shown]
	v_add_f64 v[52:53], v[32:33], v[52:53]
	v_add_f64 v[73:74], v[28:29], v[93:94]
	;; [unrolled: 1-line block ×13, first 2 shown]
	v_add_f64 v[55:56], v[34:35], -v[22:23]
	v_add_f64 v[103:104], v[36:37], v[24:25]
	v_fma_f64 v[139:140], v[57:58], s[20:21], v[107:108]
	v_fma_f64 v[107:108], v[57:58], s[38:39], v[107:108]
	;; [unrolled: 1-line block ×12, first 2 shown]
	v_add_f64 v[52:53], v[24:25], v[52:53]
	v_add_f64 v[71:72], v[117:118], v[73:74]
	;; [unrolled: 1-line block ×13, first 2 shown]
	v_add_f64 v[83:84], v[26:27], -v[38:39]
	v_add_f64 v[87:88], v[16:17], v[12:13]
	v_mul_f64 v[91:92], v[103:104], s[16:17]
	v_mul_f64 v[95:96], v[103:104], s[4:5]
	;; [unrolled: 1-line block ×4, first 2 shown]
	v_fma_f64 v[117:118], v[55:56], s[42:43], v[129:130]
	v_fma_f64 v[119:120], v[55:56], s[22:23], v[129:130]
	;; [unrolled: 1-line block ×7, first 2 shown]
	v_mul_f64 v[97:98], v[103:104], s[10:11]
	v_mul_f64 v[103:104], v[103:104], s[12:13]
	v_fma_f64 v[125:126], v[55:56], s[44:45], v[133:134]
	v_fma_f64 v[127:128], v[55:56], s[26:27], v[133:134]
	;; [unrolled: 1-line block ×5, first 2 shown]
	v_add_f64 v[52:53], v[12:13], v[52:53]
	v_add_f64 v[71:72], v[139:140], v[71:72]
	;; [unrolled: 1-line block ×13, first 2 shown]
	v_add_f64 v[69:70], v[14:15], -v[18:19]
	v_mul_f64 v[107:108], v[87:88], s[18:19]
	v_mul_f64 v[109:110], v[87:88], s[14:15]
	;; [unrolled: 1-line block ×4, first 2 shown]
	v_fma_f64 v[137:138], v[83:84], s[40:41], v[91:92]
	v_fma_f64 v[139:140], v[83:84], s[38:39], v[95:96]
	;; [unrolled: 1-line block ×5, first 2 shown]
	v_mul_f64 v[111:112], v[87:88], s[16:17]
	v_mul_f64 v[87:88], v[87:88], s[4:5]
	v_fma_f64 v[91:92], v[83:84], s[28:29], v[91:92]
	v_fma_f64 v[141:142], v[83:84], s[24:25], v[97:98]
	;; [unrolled: 1-line block ×7, first 2 shown]
	v_add_f64 v[52:53], v[16:17], v[52:53]
	v_add_f64 v[71:72], v[117:118], v[71:72]
	;; [unrolled: 1-line block ×13, first 2 shown]
	v_fma_f64 v[67:68], v[69:70], s[36:37], v[107:108]
	v_fma_f64 v[101:102], v[69:70], s[30:31], v[107:108]
	;; [unrolled: 1-line block ×12, first 2 shown]
	v_add_f64 v[52:53], v[36:37], v[52:53]
	v_add_f64 v[71:72], v[137:138], v[71:72]
	;; [unrolled: 1-line block ×23, first 2 shown]
	v_and_b32_e32 v28, 1, v54
	s_delay_alu instid0(VALU_DEP_1) | instskip(NEXT) | instid1(VALU_DEP_1)
	v_cmp_eq_u32_e64 s0, 1, v28
	v_cndmask_b32_e64 v93, 0, 0x152, s0
	v_cmp_gt_u32_e64 s0, 13, v82
	s_delay_alu instid0(VALU_DEP_2) | instskip(NEXT) | instid1(VALU_DEP_1)
	v_lshl_add_u32 v29, v93, 3, 0
	v_mad_u32_u24 v28, 0x68, v82, v29
	v_lshl_add_u32 v92, v82, 3, v29
	s_delay_alu instid0(VALU_DEP_2) | instskip(SKIP_1) | instid1(VALU_DEP_2)
	v_mad_i32_i24 v91, 0xffffffa0, v82, v28
	v_add_f64 v[52:53], v[8:9], v[52:53]
	v_add_nc_u32_e32 v29, 0x400, v91
	s_delay_alu instid0(VALU_DEP_2) | instskip(SKIP_3) | instid1(VALU_DEP_4)
	v_add_f64 v[83:84], v[4:5], v[52:53]
	v_add_f64 v[52:53], v[101:102], v[59:60]
	;; [unrolled: 1-line block ×5, first 2 shown]
	ds_store_2addr_b64 v28, v[73:74], v[85:86] offset0:4 offset1:5
	ds_store_2addr_b64 v28, v[89:90], v[57:58] offset0:6 offset1:7
	;; [unrolled: 1-line block ×4, first 2 shown]
	ds_store_b64 v28, v[52:53] offset:96
	ds_store_2addr_b64 v28, v[63:64], v[67:68] offset1:1
	ds_store_2addr_b64 v28, v[61:62], v[69:70] offset0:2 offset1:3
	s_waitcnt lgkmcnt(0)
	s_barrier
	buffer_gl0_inv
	ds_load_2addr_b64 v[64:67], v91 offset0:130 offset1:169
	ds_load_2addr_b64 v[68:71], v91 offset0:26 offset1:52
	;; [unrolled: 1-line block ×5, first 2 shown]
	ds_load_b64 v[85:86], v92
	ds_load_b64 v[83:84], v91 offset:2392
	s_and_saveexec_b32 s1, s0
	s_cbranch_execz .LBB0_15
; %bb.14:
	ds_load_2addr_b64 v[52:55], v29 offset0:28 offset1:197
.LBB0_15:
	s_or_b32 exec_lo, exec_lo, s1
	v_add_f64 v[87:88], v[50:51], v[30:31]
	v_add_f64 v[0:1], v[48:49], -v[0:1]
	v_add_f64 v[4:5], v[44:45], -v[4:5]
	v_add_f64 v[44:45], v[2:3], v[50:51]
	v_add_f64 v[8:9], v[40:41], -v[8:9]
	v_add_f64 v[40:41], v[6:7], v[46:47]
	v_add_f64 v[20:21], v[32:33], -v[20:21]
	v_add_f64 v[24:25], v[24:25], -v[36:37]
	;; [unrolled: 1-line block ×3, first 2 shown]
	s_waitcnt lgkmcnt(0)
	s_barrier
	buffer_gl0_inv
	v_add_f64 v[87:88], v[46:47], v[87:88]
	v_mul_f64 v[50:51], v[0:1], s[44:45]
	v_mul_f64 v[89:90], v[0:1], s[22:23]
	;; [unrolled: 1-line block ×18, first 2 shown]
	v_add_f64 v[87:88], v[42:43], v[87:88]
	v_fma_f64 v[106:107], v[44:45], s[14:15], v[50:51]
	v_fma_f64 v[50:51], v[44:45], s[14:15], -v[50:51]
	v_fma_f64 v[110:111], v[44:45], s[12:13], v[89:90]
	v_fma_f64 v[112:113], v[44:45], s[16:17], v[94:95]
	v_fma_f64 v[89:90], v[44:45], s[12:13], -v[89:90]
	v_fma_f64 v[114:115], v[44:45], s[18:19], v[96:97]
	v_fma_f64 v[96:97], v[44:45], s[18:19], -v[96:97]
	v_fma_f64 v[94:95], v[44:45], s[16:17], -v[94:95]
	v_add_f64 v[42:43], v[10:11], v[42:43]
	v_fma_f64 v[124:125], v[40:41], s[10:11], v[46:47]
	v_fma_f64 v[46:47], v[40:41], s[10:11], -v[46:47]
	v_fma_f64 v[126:127], v[40:41], s[12:13], v[98:99]
	v_fma_f64 v[98:99], v[40:41], s[12:13], -v[98:99]
	v_fma_f64 v[128:129], v[40:41], s[18:19], v[100:101]
	v_fma_f64 v[100:101], v[40:41], s[18:19], -v[100:101]
	v_fma_f64 v[130:131], v[40:41], s[16:17], v[102:103]
	v_fma_f64 v[102:103], v[40:41], s[16:17], -v[102:103]
	v_fma_f64 v[132:133], v[40:41], s[4:5], v[104:105]
	v_fma_f64 v[104:105], v[40:41], s[4:5], -v[104:105]
	v_fma_f64 v[134:135], v[40:41], s[14:15], v[4:5]
	v_fma_f64 v[4:5], v[40:41], s[14:15], -v[4:5]
	v_add_f64 v[48:49], v[34:35], v[87:88]
	v_mul_f64 v[87:88], v[0:1], s[34:35]
	v_mul_f64 v[0:1], v[0:1], s[38:39]
	v_add_f64 v[40:41], v[30:31], v[106:107]
	v_add_f64 v[50:51], v[30:31], v[50:51]
	;; [unrolled: 1-line block ×5, first 2 shown]
	v_fma_f64 v[140:141], v[42:43], s[4:5], v[32:33]
	v_fma_f64 v[32:33], v[42:43], s[4:5], -v[32:33]
	v_fma_f64 v[144:145], v[42:43], s[12:13], v[118:119]
	v_fma_f64 v[118:119], v[42:43], s[12:13], -v[118:119]
	;; [unrolled: 2-line block ×4, first 2 shown]
	v_add_f64 v[48:49], v[26:27], v[48:49]
	v_fma_f64 v[108:109], v[44:45], s[10:11], -v[87:88]
	v_fma_f64 v[116:117], v[44:45], s[4:5], -v[0:1]
	v_fma_f64 v[87:88], v[44:45], s[10:11], v[87:88]
	v_fma_f64 v[0:1], v[44:45], s[4:5], v[0:1]
	v_mul_f64 v[44:45], v[8:9], s[30:31]
	v_mul_f64 v[8:9], v[8:9], s[28:29]
	v_add_f64 v[40:41], v[124:125], v[40:41]
	v_add_f64 v[89:90], v[102:103], v[89:90]
	;; [unrolled: 1-line block ×5, first 2 shown]
	v_mul_f64 v[104:105], v[24:25], s[36:37]
	v_add_f64 v[48:49], v[14:15], v[48:49]
	v_add_f64 v[106:107], v[30:31], v[108:109]
	;; [unrolled: 1-line block ×9, first 2 shown]
	v_mul_f64 v[34:35], v[20:21], s[22:23]
	v_mul_f64 v[116:117], v[20:21], s[26:27]
	;; [unrolled: 1-line block ×3, first 2 shown]
	v_fma_f64 v[142:143], v[42:43], s[18:19], v[44:45]
	v_fma_f64 v[44:45], v[42:43], s[18:19], -v[44:45]
	v_fma_f64 v[150:151], v[42:43], s[16:17], v[8:9]
	v_fma_f64 v[8:9], v[42:43], s[16:17], -v[8:9]
	v_add_f64 v[42:43], v[46:47], v[50:51]
	v_add_f64 v[14:15], v[18:19], v[14:15]
	;; [unrolled: 1-line block ×10, first 2 shown]
	v_mul_f64 v[100:101], v[24:25], s[34:35]
	v_mul_f64 v[106:107], v[24:25], s[26:27]
	v_fma_f64 v[108:109], v[30:31], s[12:13], v[34:35]
	v_fma_f64 v[34:35], v[30:31], s[12:13], -v[34:35]
	v_fma_f64 v[110:111], v[30:31], s[16:17], v[36:37]
	v_fma_f64 v[36:37], v[30:31], s[16:17], -v[36:37]
	;; [unrolled: 2-line block ×6, first 2 shown]
	v_add_f64 v[30:31], v[140:141], v[40:41]
	v_add_f64 v[32:33], v[32:33], v[42:43]
	;; [unrolled: 1-line block ×4, first 2 shown]
	v_mul_f64 v[18:19], v[12:13], s[30:31]
	v_mul_f64 v[94:95], v[12:13], s[28:29]
	v_fma_f64 v[122:123], v[26:27], s[18:19], v[104:105]
	v_fma_f64 v[104:105], v[26:27], s[18:19], -v[104:105]
	v_add_f64 v[48:49], v[38:39], v[48:49]
	v_mul_f64 v[38:39], v[24:25], s[20:21]
	v_mul_f64 v[24:25], v[24:25], s[22:23]
	v_add_f64 v[40:41], v[44:45], v[46:47]
	v_add_f64 v[42:43], v[146:147], v[50:51]
	;; [unrolled: 1-line block ×8, first 2 shown]
	v_mul_f64 v[96:97], v[12:13], s[24:25]
	v_mul_f64 v[98:99], v[12:13], s[22:23]
	v_fma_f64 v[102:103], v[26:27], s[16:17], v[16:17]
	v_fma_f64 v[16:17], v[26:27], s[16:17], -v[16:17]
	v_fma_f64 v[120:121], v[26:27], s[10:11], v[100:101]
	v_fma_f64 v[100:101], v[26:27], s[10:11], -v[100:101]
	;; [unrolled: 2-line block ×3, first 2 shown]
	v_add_f64 v[4:5], v[20:21], v[4:5]
	v_add_f64 v[8:9], v[128:129], v[8:9]
	;; [unrolled: 1-line block ×3, first 2 shown]
	v_mul_f64 v[48:49], v[12:13], s[26:27]
	v_mul_f64 v[12:13], v[12:13], s[20:21]
	v_fma_f64 v[118:119], v[26:27], s[4:5], v[38:39]
	v_fma_f64 v[38:39], v[26:27], s[4:5], -v[38:39]
	v_fma_f64 v[134:135], v[26:27], s[12:13], v[24:25]
	v_fma_f64 v[24:25], v[26:27], s[12:13], -v[24:25]
	v_add_f64 v[26:27], v[108:109], v[30:31]
	v_add_f64 v[30:31], v[34:35], v[32:33]
	;; [unrolled: 1-line block ×10, first 2 shown]
	v_fma_f64 v[50:51], v[14:15], s[16:17], v[94:95]
	v_fma_f64 v[87:88], v[14:15], s[16:17], -v[94:95]
	v_fma_f64 v[89:90], v[14:15], s[10:11], v[96:97]
	v_fma_f64 v[94:95], v[14:15], s[10:11], -v[96:97]
	;; [unrolled: 2-line block ×3, first 2 shown]
	v_add_f64 v[10:11], v[10:11], v[22:23]
	v_fma_f64 v[22:23], v[14:15], s[18:19], v[18:19]
	v_fma_f64 v[18:19], v[14:15], s[18:19], -v[18:19]
	v_fma_f64 v[46:47], v[14:15], s[14:15], v[48:49]
	v_fma_f64 v[48:49], v[14:15], s[14:15], -v[48:49]
	;; [unrolled: 2-line block ×3, first 2 shown]
	v_add_f64 v[14:15], v[102:103], v[26:27]
	v_add_f64 v[16:17], v[16:17], v[30:31]
	;; [unrolled: 1-line block ×26, first 2 shown]
	ds_store_2addr_b64 v28, v[16:17], v[22:23] offset0:4 offset1:5
	ds_store_2addr_b64 v28, v[26:27], v[4:5] offset0:6 offset1:7
	;; [unrolled: 1-line block ×4, first 2 shown]
	ds_store_b64 v28, v[8:9] offset:96
	ds_store_2addr_b64 v28, v[2:3], v[10:11] offset1:1
	ds_store_2addr_b64 v28, v[24:25], v[0:1] offset0:2 offset1:3
	s_waitcnt lgkmcnt(0)
	s_barrier
	buffer_gl0_inv
	ds_load_2addr_b64 v[0:3], v91 offset0:130 offset1:169
	ds_load_2addr_b64 v[4:7], v91 offset0:26 offset1:52
	;; [unrolled: 1-line block ×5, first 2 shown]
	ds_load_b64 v[87:88], v92
	ds_load_b64 v[89:90], v91 offset:2392
	s_and_saveexec_b32 s1, s0
	s_cbranch_execz .LBB0_17
; %bb.16:
	v_add_nc_u32_e32 v8, 0x400, v91
	ds_load_2addr_b64 v[8:11], v8 offset0:28 offset1:197
.LBB0_17:
	s_or_b32 exec_lo, exec_lo, s1
	v_add_nc_u16 v26, v82, 26
	v_add_nc_u16 v27, v82, 52
	;; [unrolled: 1-line block ×5, first 2 shown]
	v_and_b32_e32 v31, 0xff, v26
	v_and_b32_e32 v32, 0xff, v27
	;; [unrolled: 1-line block ×5, first 2 shown]
	v_mul_lo_u16 v31, 0x4f, v31
	v_mul_lo_u16 v32, 0x4f, v32
	;; [unrolled: 1-line block ×5, first 2 shown]
	v_lshrrev_b16 v115, 10, v31
	v_dual_mov_b32 v95, 0 :: v_dual_add_nc_u32 v24, -13, v82
	v_lshrrev_b16 v116, 10, v32
	v_lshrrev_b16 v117, 10, v33
	;; [unrolled: 1-line block ×4, first 2 shown]
	v_mul_lo_u16 v31, v115, 13
	v_cndmask_b32_e64 v94, v24, v82, s0
	v_mul_lo_u16 v32, v116, 13
	v_mul_lo_u16 v33, v117, 13
	v_mul_lo_u16 v34, v118, 13
	v_mul_lo_u16 v35, v119, 13
	v_sub_nc_u16 v26, v26, v31
	v_lshlrev_b64 v[24:25], 4, v[94:95]
	v_sub_nc_u16 v27, v27, v32
	v_sub_nc_u16 v28, v28, v33
	;; [unrolled: 1-line block ×4, first 2 shown]
	v_and_b32_e32 v120, 0xff, v26
	v_and_b32_e32 v121, 0xff, v27
	v_add_co_u32 v24, s1, s8, v24
	v_and_b32_e32 v122, 0xff, v28
	v_and_b32_e32 v123, 0xff, v29
	;; [unrolled: 1-line block ×3, first 2 shown]
	v_add_co_ci_u32_e64 v25, s1, s9, v25, s1
	v_lshlrev_b32_e32 v26, 4, v120
	v_lshlrev_b32_e32 v27, 4, v121
	;; [unrolled: 1-line block ×5, first 2 shown]
	s_clause 0x5
	global_load_b128 v[28:31], v[24:25], off
	global_load_b128 v[32:35], v26, s[8:9]
	global_load_b128 v[36:39], v27, s[8:9]
	;; [unrolled: 1-line block ×5, first 2 shown]
	v_add_nc_u16 v24, v82, 0x9c
	v_cmp_lt_u32_e64 s1, 12, v82
	s_delay_alu instid0(VALU_DEP_2) | instskip(NEXT) | instid1(VALU_DEP_2)
	v_and_b32_e32 v25, 0xff, v24
	v_cndmask_b32_e64 v126, 0, 0xd0, s1
	s_delay_alu instid0(VALU_DEP_2) | instskip(NEXT) | instid1(VALU_DEP_1)
	v_mul_lo_u16 v25, 0x4f, v25
	v_lshrrev_b16 v25, 10, v25
	s_delay_alu instid0(VALU_DEP_1) | instskip(NEXT) | instid1(VALU_DEP_1)
	v_mul_lo_u16 v25, v25, 13
	v_sub_nc_u16 v24, v24, v25
	s_delay_alu instid0(VALU_DEP_1) | instskip(NEXT) | instid1(VALU_DEP_1)
	v_and_b32_e32 v125, 0xff, v24
	v_lshlrev_b32_e32 v24, 4, v125
	global_load_b128 v[24:27], v24, s[8:9]
	s_waitcnt vmcnt(0) lgkmcnt(0)
	s_barrier
	buffer_gl0_inv
	v_mul_f64 v[95:96], v[2:3], v[30:31]
	v_mul_f64 v[97:98], v[16:17], v[34:35]
	;; [unrolled: 1-line block ×6, first 2 shown]
	v_fma_f64 v[95:96], v[66:67], v[28:29], -v[95:96]
	v_fma_f64 v[97:98], v[60:61], v[32:33], -v[97:98]
	;; [unrolled: 1-line block ×6, first 2 shown]
	v_add_f64 v[95:96], v[85:86], -v[95:96]
	v_add_f64 v[97:98], v[68:69], -v[97:98]
	;; [unrolled: 1-line block ×6, first 2 shown]
	v_fma_f64 v[85:86], v[85:86], 2.0, -v[95:96]
	v_fma_f64 v[107:108], v[68:69], 2.0, -v[97:98]
	;; [unrolled: 1-line block ×6, first 2 shown]
	v_lshlrev_b32_e32 v64, 3, v93
	v_add_nc_u32_e32 v65, 0, v126
	v_lshlrev_b32_e32 v68, 3, v94
	v_and_b32_e32 v69, 0xffff, v116
	v_and_b32_e32 v70, 0xffff, v117
	;; [unrolled: 1-line block ×4, first 2 shown]
	v_add3_u32 v65, v65, v68, v64
	v_and_b32_e32 v68, 0xffff, v115
	v_mad_u32_u24 v93, 0xd0, v69, 0
	v_mad_u32_u24 v94, 0xd0, v70, 0
	;; [unrolled: 1-line block ×5, first 2 shown]
	v_lshlrev_b32_e32 v69, 3, v120
	v_lshlrev_b32_e32 v70, 3, v121
	;; [unrolled: 1-line block ×6, first 2 shown]
	v_add3_u32 v69, v73, v69, v64
	v_add3_u32 v70, v93, v70, v64
	;; [unrolled: 1-line block ×5, first 2 shown]
	ds_store_2addr_b64 v65, v[85:86], v[95:96] offset1:13
	ds_store_2addr_b64 v69, v[107:108], v[97:98] offset1:13
	;; [unrolled: 1-line block ×6, first 2 shown]
	s_and_saveexec_b32 s1, s0
	s_cbranch_execz .LBB0_19
; %bb.18:
	v_mul_f64 v[74:75], v[10:11], v[26:27]
	v_add3_u32 v85, 0, v68, v64
	s_delay_alu instid0(VALU_DEP_1) | instskip(NEXT) | instid1(VALU_DEP_3)
	v_add_nc_u32_e32 v85, 0x800, v85
	v_fma_f64 v[74:75], v[54:55], v[24:25], -v[74:75]
	s_delay_alu instid0(VALU_DEP_1) | instskip(NEXT) | instid1(VALU_DEP_1)
	v_add_f64 v[74:75], v[52:53], -v[74:75]
	v_fma_f64 v[52:53], v[52:53], 2.0, -v[74:75]
	ds_store_2addr_b64 v85, v[52:53], v[74:75] offset0:56 offset1:69
.LBB0_19:
	s_or_b32 exec_lo, exec_lo, s1
	v_mul_f64 v[30:31], v[66:67], v[30:31]
	v_mul_f64 v[34:35], v[60:61], v[34:35]
	;; [unrolled: 1-line block ×6, first 2 shown]
	s_waitcnt lgkmcnt(0)
	s_barrier
	buffer_gl0_inv
	v_fma_f64 v[2:3], v[2:3], v[28:29], v[30:31]
	v_fma_f64 v[16:17], v[16:17], v[32:33], v[34:35]
	;; [unrolled: 1-line block ×6, first 2 shown]
	v_add_f64 v[30:31], v[87:88], -v[2:3]
	v_add_f64 v[32:33], v[4:5], -v[16:17]
	;; [unrolled: 1-line block ×6, first 2 shown]
	v_fma_f64 v[47:48], v[87:88], 2.0, -v[30:31]
	v_fma_f64 v[49:50], v[4:5], 2.0, -v[32:33]
	;; [unrolled: 1-line block ×6, first 2 shown]
	v_lshlrev_b32_e32 v0, 3, v82
	s_delay_alu instid0(VALU_DEP_1)
	v_add3_u32 v46, 0, v0, v64
	ds_load_2addr_b64 v[4:7], v91 offset0:26 offset1:52
	ds_load_2addr_b64 v[16:19], v91 offset0:78 offset1:104
	;; [unrolled: 1-line block ×3, first 2 shown]
	v_add_nc_u32_e32 v12, 0x800, v46
	ds_load_2addr_b64 v[20:23], v46 offset0:208 offset1:234
	ds_load_b64 v[28:29], v92
	ds_load_b64 v[42:43], v91 offset:1040
	ds_load_b64 v[44:45], v46 offset:2496
	ds_load_2addr_b64 v[12:15], v12 offset0:4 offset1:30
	s_waitcnt lgkmcnt(0)
	s_barrier
	buffer_gl0_inv
	ds_store_2addr_b64 v65, v[47:48], v[30:31] offset1:13
	ds_store_2addr_b64 v69, v[49:50], v[32:33] offset1:13
	;; [unrolled: 1-line block ×6, first 2 shown]
	s_and_saveexec_b32 s1, s0
	s_cbranch_execz .LBB0_21
; %bb.20:
	v_mul_f64 v[26:27], v[54:55], v[26:27]
	s_delay_alu instid0(VALU_DEP_1) | instskip(SKIP_1) | instid1(VALU_DEP_1)
	v_fma_f64 v[10:11], v[10:11], v[24:25], v[26:27]
	v_add3_u32 v24, 0, v68, v64
	v_add_nc_u32_e32 v24, 0x800, v24
	s_delay_alu instid0(VALU_DEP_3) | instskip(NEXT) | instid1(VALU_DEP_1)
	v_add_f64 v[10:11], v[8:9], -v[10:11]
	v_fma_f64 v[8:9], v[8:9], 2.0, -v[10:11]
	ds_store_2addr_b64 v24, v[8:9], v[10:11] offset0:56 offset1:69
.LBB0_21:
	s_or_b32 exec_lo, exec_lo, s1
	s_waitcnt lgkmcnt(0)
	s_barrier
	buffer_gl0_inv
	s_and_saveexec_b32 s0, vcc_lo
	s_cbranch_execz .LBB0_23
; %bb.22:
	v_mul_u32_u24_e32 v8, 12, v82
	s_mov_b32 s0, 0x93053d00
	s_mov_b32 s1, 0xbfef11f4
	;; [unrolled: 1-line block ×4, first 2 shown]
	v_lshlrev_b32_e32 v47, 4, v8
	s_mov_b32 s10, 0x4267c47c
	s_mov_b32 s11, 0xbfddbe06
	;; [unrolled: 1-line block ×4, first 2 shown]
	s_clause 0x1
	global_load_b128 v[24:27], v47, s[8:9] offset:320
	global_load_b128 v[48:51], v47, s[8:9] offset:304
	ds_load_2addr_b64 v[30:33], v46 offset0:208 offset1:234
	s_mov_b32 s15, 0x3fddbe06
	s_mov_b32 s14, s10
	s_mov_b32 s12, 0xd0032e0c
	s_mov_b32 s13, 0xbfe7f3cc
	s_mov_b32 s16, 0x24c2f84
	s_mov_b32 s17, 0x3fe5384d
	s_mov_b32 s23, 0xbfe5384d
	s_mov_b32 s22, s16
	s_mov_b32 s20, 0x1ea71119
	s_mov_b32 s21, 0x3fe22d96
	s_mov_b32 s24, 0x42a4c3d2
	s_mov_b32 s25, 0xbfea55e2
	s_mov_b32 s31, 0x3fea55e2
	s_mov_b32 s30, s24
	s_mov_b32 s26, 0xb2365da1
	s_mov_b32 s27, 0xbfd6b1d8
	s_mov_b32 s28, 0x2ef20147
	s_mov_b32 s29, 0x3fedeba7
	s_mov_b32 s39, 0xbfedeba7
	s_mov_b32 s38, s28
	s_mov_b32 s34, 0xebaa3ed8
	s_mov_b32 s40, 0x66966769
	s_mov_b32 s35, 0x3fbedb7d
	s_mov_b32 s41, 0xbfefc445
	s_mov_b32 s37, 0x3fefc445
	s_mov_b32 s36, s40
	s_waitcnt vmcnt(1)
	v_mul_f64 v[8:9], v[20:21], v[26:27]
	s_waitcnt lgkmcnt(0)
	v_mul_f64 v[10:11], v[30:31], v[26:27]
	s_delay_alu instid0(VALU_DEP_2) | instskip(NEXT) | instid1(VALU_DEP_2)
	v_fma_f64 v[8:9], v[30:31], v[24:25], v[8:9]
	v_fma_f64 v[10:11], v[20:21], v[24:25], -v[10:11]
	s_clause 0x1
	global_load_b128 v[24:27], v47, s[8:9] offset:336
	global_load_b128 v[34:37], v47, s[8:9] offset:352
	s_waitcnt vmcnt(1)
	v_mul_f64 v[20:21], v[22:23], v[26:27]
	v_mul_f64 v[26:27], v[32:33], v[26:27]
	s_delay_alu instid0(VALU_DEP_2)
	v_fma_f64 v[20:21], v[32:33], v[24:25], v[20:21]
	s_clause 0x1
	global_load_b128 v[30:33], v47, s[8:9] offset:256
	global_load_b128 v[38:41], v47, s[8:9] offset:240
	ds_load_2addr_b64 v[52:55], v91 offset0:78 offset1:104
	v_fma_f64 v[22:23], v[22:23], v[24:25], -v[26:27]
	s_waitcnt vmcnt(1) lgkmcnt(0)
	v_mul_f64 v[26:27], v[54:55], v[32:33]
	v_mul_f64 v[24:25], v[18:19], v[32:33]
	s_delay_alu instid0(VALU_DEP_2) | instskip(SKIP_2) | instid1(VALU_DEP_3)
	v_fma_f64 v[18:19], v[18:19], v[30:31], -v[26:27]
	s_waitcnt vmcnt(0)
	v_mul_f64 v[26:27], v[16:17], v[40:41]
	v_fma_f64 v[24:25], v[54:55], v[30:31], v[24:25]
	s_delay_alu instid0(VALU_DEP_3) | instskip(NEXT) | instid1(VALU_DEP_3)
	v_add_f64 v[124:125], v[18:19], -v[22:23]
	v_fma_f64 v[30:31], v[52:53], v[38:39], v[26:27]
	v_mul_f64 v[26:27], v[52:53], v[40:41]
	s_delay_alu instid0(VALU_DEP_4) | instskip(SKIP_2) | instid1(VALU_DEP_4)
	v_add_f64 v[122:123], v[24:25], v[20:21]
	v_add_f64 v[126:127], v[24:25], -v[20:21]
	v_add_f64 v[128:129], v[18:19], v[22:23]
	v_fma_f64 v[32:33], v[16:17], v[38:39], -v[26:27]
	v_add_nc_u32_e32 v26, 0x800, v46
	v_mul_f64 v[16:17], v[12:13], v[36:37]
	v_mul_f64 v[146:147], v[122:123], s[34:35]
	;; [unrolled: 1-line block ×4, first 2 shown]
	ds_load_2addr_b64 v[38:41], v26 offset0:4 offset1:30
	v_mul_f64 v[172:173], v[126:127], s[16:17]
	s_waitcnt lgkmcnt(0)
	v_mul_f64 v[26:27], v[38:39], v[36:37]
	v_fma_f64 v[16:17], v[38:39], v[34:35], v[16:17]
	s_delay_alu instid0(VALU_DEP_2)
	v_fma_f64 v[12:13], v[12:13], v[34:35], -v[26:27]
	s_clause 0x1
	global_load_b128 v[34:37], v47, s[8:9] offset:368
	global_load_b128 v[52:55], v47, s[8:9] offset:384
	v_add_f64 v[118:119], v[30:31], -v[16:17]
	v_add_f64 v[120:121], v[32:33], v[12:13]
	s_delay_alu instid0(VALU_DEP_2) | instskip(SKIP_4) | instid1(VALU_DEP_2)
	v_mul_f64 v[116:117], v[118:119], s[14:15]
	v_mul_f64 v[168:169], v[118:119], s[18:19]
	s_waitcnt vmcnt(1)
	v_mul_f64 v[26:27], v[14:15], v[36:37]
	v_mul_f64 v[36:37], v[40:41], v[36:37]
	v_fma_f64 v[26:27], v[40:41], v[34:35], v[26:27]
	s_delay_alu instid0(VALU_DEP_2)
	v_fma_f64 v[14:15], v[14:15], v[34:35], -v[36:37]
	s_clause 0x1
	global_load_b128 v[36:39], v47, s[8:9] offset:224
	global_load_b128 v[56:59], v47, s[8:9] offset:208
	ds_load_2addr_b64 v[60:63], v91 offset0:26 offset1:52
	s_waitcnt vmcnt(1)
	v_mul_f64 v[34:35], v[6:7], v[38:39]
	s_waitcnt lgkmcnt(0)
	v_mul_f64 v[38:39], v[62:63], v[38:39]
	s_delay_alu instid0(VALU_DEP_2) | instskip(NEXT) | instid1(VALU_DEP_2)
	v_fma_f64 v[34:35], v[62:63], v[36:37], v[34:35]
	v_fma_f64 v[6:7], v[6:7], v[36:37], -v[38:39]
	s_waitcnt vmcnt(0)
	v_mul_f64 v[36:37], v[4:5], v[58:59]
	v_mul_f64 v[38:39], v[60:61], v[58:59]
	s_delay_alu instid0(VALU_DEP_4) | instskip(NEXT) | instid1(VALU_DEP_3)
	v_add_f64 v[68:69], v[34:35], -v[26:27]
	v_fma_f64 v[36:37], v[60:61], v[56:57], v[36:37]
	s_delay_alu instid0(VALU_DEP_3)
	v_fma_f64 v[4:5], v[4:5], v[56:57], -v[38:39]
	global_load_b128 v[56:59], v47, s[8:9] offset:288
	ds_load_2addr_b64 v[60:63], v46 offset0:156 offset1:182
	v_mul_f64 v[88:89], v[68:69], s[14:15]
	v_mul_f64 v[164:165], v[68:69], s[38:39]
	;; [unrolled: 1-line block ×3, first 2 shown]
	s_waitcnt vmcnt(0) lgkmcnt(0)
	v_mul_f64 v[40:41], v[60:61], v[58:59]
	v_mul_f64 v[38:39], v[0:1], v[58:59]
	s_delay_alu instid0(VALU_DEP_2) | instskip(SKIP_2) | instid1(VALU_DEP_4)
	v_fma_f64 v[0:1], v[0:1], v[56:57], -v[40:41]
	v_mul_f64 v[40:41], v[2:3], v[50:51]
	v_mul_f64 v[50:51], v[62:63], v[50:51]
	v_fma_f64 v[38:39], v[60:61], v[56:57], v[38:39]
	s_delay_alu instid0(VALU_DEP_3) | instskip(NEXT) | instid1(VALU_DEP_3)
	v_fma_f64 v[40:41], v[62:63], v[48:49], v[40:41]
	v_fma_f64 v[2:3], v[2:3], v[48:49], -v[50:51]
	ds_load_b64 v[60:61], v46 offset:2496
	ds_load_b64 v[48:49], v91 offset:1040
	ds_load_b64 v[50:51], v92
	global_load_b128 v[56:59], v47, s[8:9] offset:272
	v_add_f64 v[62:63], v[34:35], v[26:27]
	s_mov_b32 s8, 0xe00740e9
	s_mov_b32 s9, 0x3fec55a7
	v_add_f64 v[138:139], v[38:39], v[40:41]
	v_add_f64 v[142:143], v[38:39], -v[40:41]
	v_add_f64 v[140:141], v[0:1], -v[2:3]
	v_add_f64 v[144:145], v[0:1], v[2:3]
	v_mul_f64 v[74:75], v[62:63], s[8:9]
	v_mul_f64 v[160:161], v[62:63], s[26:27]
	;; [unrolled: 1-line block ×15, first 2 shown]
	s_waitcnt vmcnt(0)
	v_mul_f64 v[46:47], v[42:43], v[58:59]
	s_waitcnt lgkmcnt(1)
	s_delay_alu instid0(VALU_DEP_1) | instskip(SKIP_1) | instid1(VALU_DEP_2)
	v_fma_f64 v[46:47], v[48:49], v[56:57], v[46:47]
	v_mul_f64 v[48:49], v[48:49], v[58:59]
	v_add_f64 v[130:131], v[46:47], v[8:9]
	s_delay_alu instid0(VALU_DEP_2)
	v_fma_f64 v[48:49], v[42:43], v[56:57], -v[48:49]
	v_mul_f64 v[42:43], v[44:45], v[54:55]
	v_mul_f64 v[54:55], v[60:61], v[54:55]
	v_add_f64 v[134:135], v[46:47], -v[8:9]
	v_mul_f64 v[150:151], v[130:131], s[0:1]
	v_add_f64 v[132:133], v[48:49], -v[10:11]
	v_fma_f64 v[42:43], v[60:61], v[52:53], v[42:43]
	v_fma_f64 v[44:45], v[44:45], v[52:53], -v[54:55]
	v_add_f64 v[136:137], v[48:49], v[10:11]
	v_mul_f64 v[152:153], v[134:135], s[4:5]
	v_mul_f64 v[174:175], v[130:131], s[34:35]
	;; [unrolled: 1-line block ×3, first 2 shown]
	v_add_f64 v[52:53], v[36:37], v[42:43]
	v_add_f64 v[54:55], v[4:5], -v[44:45]
	v_add_f64 v[66:67], v[36:37], -v[42:43]
	s_waitcnt lgkmcnt(0)
	v_add_f64 v[36:37], v[50:51], v[36:37]
	s_delay_alu instid0(VALU_DEP_4) | instskip(SKIP_1) | instid1(VALU_DEP_4)
	v_mul_f64 v[72:73], v[52:53], s[0:1]
	v_mul_f64 v[158:159], v[52:53], s[20:21]
	;; [unrolled: 1-line block ×6, first 2 shown]
	v_fma_f64 v[56:57], v[54:55], s[4:5], v[72:73]
	v_fma_f64 v[72:73], v[54:55], s[18:19], v[72:73]
	s_delay_alu instid0(VALU_DEP_2) | instskip(SKIP_1) | instid1(VALU_DEP_3)
	v_add_f64 v[58:59], v[50:51], v[56:57]
	v_add_f64 v[56:57], v[6:7], -v[14:15]
	v_add_f64 v[72:73], v[50:51], v[72:73]
	s_delay_alu instid0(VALU_DEP_2) | instskip(SKIP_1) | instid1(VALU_DEP_2)
	v_fma_f64 v[60:61], v[56:57], s[10:11], v[74:75]
	v_fma_f64 v[74:75], v[56:57], s[14:15], v[74:75]
	v_add_f64 v[82:83], v[60:61], v[58:59]
	v_add_f64 v[58:59], v[4:5], v[44:45]
	s_delay_alu instid0(VALU_DEP_3) | instskip(SKIP_1) | instid1(VALU_DEP_3)
	v_add_f64 v[72:73], v[74:75], v[72:73]
	v_add_f64 v[4:5], v[28:29], v[4:5]
	v_fma_f64 v[60:61], v[58:59], s[0:1], v[86:87]
	v_fma_f64 v[74:75], v[58:59], s[0:1], -v[86:87]
	s_delay_alu instid0(VALU_DEP_3) | instskip(NEXT) | instid1(VALU_DEP_3)
	v_add_f64 v[4:5], v[6:7], v[4:5]
	v_add_f64 v[64:65], v[28:29], v[60:61]
	;; [unrolled: 1-line block ×3, first 2 shown]
	s_delay_alu instid0(VALU_DEP_4) | instskip(NEXT) | instid1(VALU_DEP_4)
	v_add_f64 v[74:75], v[28:29], v[74:75]
	v_add_f64 v[4:5], v[32:33], v[4:5]
	s_delay_alu instid0(VALU_DEP_3)
	v_fma_f64 v[70:71], v[60:61], s[8:9], v[88:89]
	v_fma_f64 v[86:87], v[60:61], s[8:9], -v[88:89]
	v_fma_f64 v[88:89], v[144:145], s[34:35], -v[106:107]
	;; [unrolled: 1-line block ×3, first 2 shown]
	v_add_f64 v[4:5], v[18:19], v[4:5]
	v_add_f64 v[84:85], v[70:71], v[64:65]
	;; [unrolled: 1-line block ×3, first 2 shown]
	v_add_f64 v[64:65], v[32:33], -v[12:13]
	v_add_f64 v[74:75], v[86:87], v[74:75]
	v_add_f64 v[4:5], v[48:49], v[4:5]
	s_delay_alu instid0(VALU_DEP_4) | instskip(SKIP_1) | instid1(VALU_DEP_3)
	v_mul_f64 v[90:91], v[70:71], s[12:13]
	v_mul_f64 v[166:167], v[70:71], s[0:1]
	v_add_f64 v[0:1], v[0:1], v[4:5]
	s_delay_alu instid0(VALU_DEP_3) | instskip(SKIP_2) | instid1(VALU_DEP_4)
	v_fma_f64 v[92:93], v[64:65], s[16:17], v[90:91]
	v_fma_f64 v[86:87], v[64:65], s[22:23], v[90:91]
	v_mul_f64 v[90:91], v[52:53], s[12:13]
	v_add_f64 v[0:1], v[2:3], v[0:1]
	s_delay_alu instid0(VALU_DEP_4) | instskip(SKIP_2) | instid1(VALU_DEP_4)
	v_add_f64 v[82:83], v[92:93], v[82:83]
	v_mul_f64 v[92:93], v[118:119], s[22:23]
	v_add_f64 v[72:73], v[86:87], v[72:73]
	v_add_f64 v[0:1], v[10:11], v[0:1]
	s_delay_alu instid0(VALU_DEP_3) | instskip(SKIP_2) | instid1(VALU_DEP_4)
	v_fma_f64 v[94:95], v[120:121], s[12:13], v[92:93]
	v_fma_f64 v[86:87], v[120:121], s[12:13], -v[92:93]
	v_mul_f64 v[92:93], v[62:63], s[34:35]
	v_add_f64 v[0:1], v[22:23], v[0:1]
	s_delay_alu instid0(VALU_DEP_4) | instskip(SKIP_2) | instid1(VALU_DEP_4)
	v_add_f64 v[84:85], v[94:95], v[84:85]
	v_mul_f64 v[94:95], v[122:123], s[20:21]
	v_add_f64 v[74:75], v[86:87], v[74:75]
	v_add_f64 v[0:1], v[12:13], v[0:1]
	s_delay_alu instid0(VALU_DEP_3) | instskip(SKIP_2) | instid1(VALU_DEP_4)
	v_fma_f64 v[96:97], v[124:125], s[24:25], v[94:95]
	v_fma_f64 v[86:87], v[124:125], s[30:31], v[94:95]
	v_mul_f64 v[94:95], v[66:67], s[22:23]
	v_add_f64 v[0:1], v[14:15], v[0:1]
	s_delay_alu instid0(VALU_DEP_4) | instskip(SKIP_2) | instid1(VALU_DEP_4)
	v_add_f64 v[82:83], v[96:97], v[82:83]
	v_mul_f64 v[96:97], v[126:127], s[30:31]
	v_add_f64 v[72:73], v[86:87], v[72:73]
	v_add_f64 v[0:1], v[44:45], v[0:1]
	s_delay_alu instid0(VALU_DEP_3) | instskip(SKIP_2) | instid1(VALU_DEP_3)
	v_fma_f64 v[98:99], v[128:129], s[20:21], v[96:97]
	v_fma_f64 v[86:87], v[128:129], s[20:21], -v[96:97]
	v_mul_f64 v[96:97], v[68:69], s[36:37]
	v_add_f64 v[84:85], v[98:99], v[84:85]
	v_mul_f64 v[98:99], v[130:131], s[26:27]
	s_delay_alu instid0(VALU_DEP_4) | instskip(NEXT) | instid1(VALU_DEP_2)
	v_add_f64 v[74:75], v[86:87], v[74:75]
	v_fma_f64 v[100:101], v[132:133], s[28:29], v[98:99]
	v_fma_f64 v[86:87], v[132:133], s[38:39], v[98:99]
	;; [unrolled: 1-line block ×3, first 2 shown]
	s_delay_alu instid0(VALU_DEP_3) | instskip(SKIP_1) | instid1(VALU_DEP_4)
	v_add_f64 v[82:83], v[100:101], v[82:83]
	v_mul_f64 v[100:101], v[134:135], s[38:39]
	v_add_f64 v[72:73], v[86:87], v[72:73]
	s_delay_alu instid0(VALU_DEP_2) | instskip(SKIP_1) | instid1(VALU_DEP_2)
	v_fma_f64 v[86:87], v[136:137], s[26:27], -v[100:101]
	v_fma_f64 v[102:103], v[136:137], s[26:27], v[100:101]
	v_add_f64 v[86:87], v[86:87], v[74:75]
	v_fma_f64 v[74:75], v[140:141], s[36:37], v[104:105]
	s_delay_alu instid0(VALU_DEP_3) | instskip(SKIP_1) | instid1(VALU_DEP_3)
	v_add_f64 v[102:103], v[102:103], v[84:85]
	v_fma_f64 v[84:85], v[140:141], s[40:41], v[104:105]
	v_add_f64 v[74:75], v[74:75], v[72:73]
	v_add_f64 v[72:73], v[88:89], v[86:87]
	v_fma_f64 v[86:87], v[54:55], s[16:17], v[90:91]
	v_fma_f64 v[88:89], v[56:57], s[40:41], v[92:93]
	v_add_f64 v[84:85], v[84:85], v[82:83]
	v_fma_f64 v[82:83], v[144:145], s[34:35], v[106:107]
	v_fma_f64 v[90:91], v[54:55], s[22:23], v[90:91]
	;; [unrolled: 1-line block ×3, first 2 shown]
	v_add_f64 v[86:87], v[50:51], v[86:87]
	s_delay_alu instid0(VALU_DEP_4) | instskip(NEXT) | instid1(VALU_DEP_4)
	v_add_f64 v[82:83], v[82:83], v[102:103]
	v_add_f64 v[90:91], v[50:51], v[90:91]
	s_delay_alu instid0(VALU_DEP_3) | instskip(SKIP_1) | instid1(VALU_DEP_3)
	v_add_f64 v[86:87], v[88:89], v[86:87]
	v_fma_f64 v[88:89], v[58:59], s[12:13], v[94:95]
	v_add_f64 v[90:91], v[92:93], v[90:91]
	v_fma_f64 v[92:93], v[58:59], s[12:13], -v[94:95]
	v_fma_f64 v[94:95], v[60:61], s[34:35], -v[96:97]
	;; [unrolled: 1-line block ×3, first 2 shown]
	v_add_f64 v[88:89], v[28:29], v[88:89]
	s_delay_alu instid0(VALU_DEP_4) | instskip(NEXT) | instid1(VALU_DEP_2)
	v_add_f64 v[92:93], v[28:29], v[92:93]
	v_add_f64 v[88:89], v[98:99], v[88:89]
	v_mul_f64 v[98:99], v[70:71], s[20:21]
	s_delay_alu instid0(VALU_DEP_3) | instskip(NEXT) | instid1(VALU_DEP_2)
	v_add_f64 v[92:93], v[94:95], v[92:93]
	v_fma_f64 v[100:101], v[64:65], s[30:31], v[98:99]
	v_fma_f64 v[94:95], v[64:65], s[24:25], v[98:99]
	s_delay_alu instid0(VALU_DEP_2) | instskip(SKIP_1) | instid1(VALU_DEP_3)
	v_add_f64 v[86:87], v[100:101], v[86:87]
	v_mul_f64 v[100:101], v[118:119], s[24:25]
	v_add_f64 v[90:91], v[94:95], v[90:91]
	s_delay_alu instid0(VALU_DEP_2) | instskip(SKIP_2) | instid1(VALU_DEP_3)
	v_fma_f64 v[102:103], v[120:121], s[20:21], v[100:101]
	v_fma_f64 v[94:95], v[120:121], s[20:21], -v[100:101]
	v_fma_f64 v[100:101], v[56:57], s[38:39], v[160:161]
	v_add_f64 v[88:89], v[102:103], v[88:89]
	v_mul_f64 v[102:103], v[122:123], s[0:1]
	s_delay_alu instid0(VALU_DEP_4) | instskip(NEXT) | instid1(VALU_DEP_2)
	v_add_f64 v[92:93], v[94:95], v[92:93]
	v_fma_f64 v[104:105], v[124:125], s[18:19], v[102:103]
	v_fma_f64 v[94:95], v[124:125], s[4:5], v[102:103]
	v_fma_f64 v[102:103], v[60:61], s[26:27], -v[164:165]
	s_delay_alu instid0(VALU_DEP_3) | instskip(SKIP_1) | instid1(VALU_DEP_4)
	v_add_f64 v[86:87], v[104:105], v[86:87]
	v_mul_f64 v[104:105], v[126:127], s[4:5]
	v_add_f64 v[90:91], v[94:95], v[90:91]
	s_delay_alu instid0(VALU_DEP_2) | instskip(SKIP_2) | instid1(VALU_DEP_3)
	v_fma_f64 v[106:107], v[128:129], s[0:1], v[104:105]
	v_fma_f64 v[94:95], v[128:129], s[0:1], -v[104:105]
	v_fma_f64 v[104:105], v[56:57], s[18:19], v[184:185]
	v_add_f64 v[88:89], v[106:107], v[88:89]
	v_mul_f64 v[106:107], v[130:131], s[8:9]
	s_delay_alu instid0(VALU_DEP_4) | instskip(NEXT) | instid1(VALU_DEP_2)
	v_add_f64 v[92:93], v[94:95], v[92:93]
	v_fma_f64 v[108:109], v[132:133], s[10:11], v[106:107]
	v_fma_f64 v[94:95], v[132:133], s[14:15], v[106:107]
	v_mul_f64 v[106:107], v[52:53], s[26:27]
	v_mul_f64 v[52:53], v[52:53], s[8:9]
	s_delay_alu instid0(VALU_DEP_4) | instskip(SKIP_2) | instid1(VALU_DEP_2)
	v_add_f64 v[86:87], v[108:109], v[86:87]
	v_mul_f64 v[108:109], v[134:135], s[14:15]
	v_add_f64 v[90:91], v[94:95], v[90:91]
	v_fma_f64 v[110:111], v[136:137], s[8:9], v[108:109]
	v_fma_f64 v[94:95], v[136:137], s[8:9], -v[108:109]
	v_mul_f64 v[108:109], v[62:63], s[12:13]
	v_mul_f64 v[62:63], v[62:63], s[20:21]
	s_delay_alu instid0(VALU_DEP_4) | instskip(SKIP_4) | instid1(VALU_DEP_4)
	v_add_f64 v[110:111], v[110:111], v[88:89]
	v_fma_f64 v[88:89], v[140:141], s[28:29], v[112:113]
	v_add_f64 v[94:95], v[94:95], v[92:93]
	v_fma_f64 v[92:93], v[140:141], s[38:39], v[112:113]
	v_mul_f64 v[112:113], v[68:69], s[16:17]
	v_add_f64 v[88:89], v[88:89], v[86:87]
	v_fma_f64 v[86:87], v[144:145], s[26:27], v[114:115]
	s_delay_alu instid0(VALU_DEP_4)
	v_add_f64 v[92:93], v[92:93], v[90:91]
	v_add_f64 v[90:91], v[96:97], v[94:95]
	v_fma_f64 v[94:95], v[54:55], s[28:29], v[106:107]
	v_fma_f64 v[96:97], v[56:57], s[22:23], v[108:109]
	;; [unrolled: 1-line block ×3, first 2 shown]
	v_mul_f64 v[114:115], v[70:71], s[8:9]
	v_fma_f64 v[106:107], v[54:55], s[38:39], v[106:107]
	v_fma_f64 v[108:109], v[56:57], s[16:17], v[108:109]
	v_add_f64 v[86:87], v[86:87], v[110:111]
	v_mul_f64 v[110:111], v[66:67], s[38:39]
	v_add_f64 v[94:95], v[50:51], v[94:95]
	v_add_f64 v[106:107], v[50:51], v[106:107]
	s_delay_alu instid0(VALU_DEP_2) | instskip(NEXT) | instid1(VALU_DEP_4)
	v_add_f64 v[94:95], v[96:97], v[94:95]
	v_fma_f64 v[96:97], v[58:59], s[26:27], v[110:111]
	s_delay_alu instid0(VALU_DEP_3) | instskip(SKIP_4) | instid1(VALU_DEP_4)
	v_add_f64 v[106:107], v[108:109], v[106:107]
	v_fma_f64 v[108:109], v[58:59], s[26:27], -v[110:111]
	v_fma_f64 v[110:111], v[60:61], s[12:13], -v[112:113]
	;; [unrolled: 1-line block ×3, first 2 shown]
	v_add_f64 v[96:97], v[28:29], v[96:97]
	v_add_f64 v[108:109], v[28:29], v[108:109]
	s_delay_alu instid0(VALU_DEP_2) | instskip(SKIP_1) | instid1(VALU_DEP_3)
	v_add_f64 v[96:97], v[98:99], v[96:97]
	v_fma_f64 v[98:99], v[64:65], s[10:11], v[114:115]
	v_add_f64 v[108:109], v[110:111], v[108:109]
	v_fma_f64 v[110:111], v[64:65], s[14:15], v[114:115]
	v_fma_f64 v[114:115], v[60:61], s[0:1], v[188:189]
	s_delay_alu instid0(VALU_DEP_4) | instskip(SKIP_1) | instid1(VALU_DEP_4)
	v_add_f64 v[94:95], v[98:99], v[94:95]
	v_fma_f64 v[98:99], v[120:121], s[8:9], v[116:117]
	v_add_f64 v[106:107], v[110:111], v[106:107]
	v_fma_f64 v[110:111], v[120:121], s[8:9], -v[116:117]
	v_fma_f64 v[116:117], v[144:145], s[12:13], v[206:207]
	s_delay_alu instid0(VALU_DEP_4) | instskip(SKIP_1) | instid1(VALU_DEP_4)
	v_add_f64 v[96:97], v[98:99], v[96:97]
	v_fma_f64 v[98:99], v[124:125], s[36:37], v[146:147]
	v_add_f64 v[108:109], v[110:111], v[108:109]
	v_fma_f64 v[110:111], v[124:125], s[40:41], v[146:147]
	v_fma_f64 v[146:147], v[60:61], s[26:27], v[164:165]
	s_delay_alu instid0(VALU_DEP_4) | instskip(SKIP_1) | instid1(VALU_DEP_4)
	v_add_f64 v[94:95], v[98:99], v[94:95]
	v_fma_f64 v[98:99], v[128:129], s[34:35], v[148:149]
	v_add_f64 v[106:107], v[110:111], v[106:107]
	v_fma_f64 v[110:111], v[128:129], s[34:35], -v[148:149]
	v_fma_f64 v[148:149], v[144:145], s[8:9], v[180:181]
	s_delay_alu instid0(VALU_DEP_4) | instskip(SKIP_1) | instid1(VALU_DEP_4)
	v_add_f64 v[96:97], v[98:99], v[96:97]
	v_fma_f64 v[98:99], v[132:133], s[18:19], v[150:151]
	v_add_f64 v[108:109], v[110:111], v[108:109]
	v_fma_f64 v[110:111], v[132:133], s[4:5], v[150:151]
	v_mul_f64 v[150:151], v[68:69], s[24:25]
	s_delay_alu instid0(VALU_DEP_4) | instskip(SKIP_1) | instid1(VALU_DEP_4)
	v_add_f64 v[94:95], v[98:99], v[94:95]
	v_fma_f64 v[98:99], v[136:137], s[0:1], v[152:153]
	v_add_f64 v[106:107], v[110:111], v[106:107]
	v_fma_f64 v[110:111], v[136:137], s[0:1], -v[152:153]
	v_fma_f64 v[68:69], v[60:61], s[20:21], -v[150:151]
	v_fma_f64 v[60:61], v[60:61], s[20:21], v[150:151]
	v_add_f64 v[98:99], v[98:99], v[96:97]
	v_fma_f64 v[96:97], v[140:141], s[24:25], v[154:155]
	v_add_f64 v[110:111], v[110:111], v[108:109]
	v_fma_f64 v[108:109], v[140:141], s[30:31], v[154:155]
	s_delay_alu instid0(VALU_DEP_3) | instskip(SKIP_1) | instid1(VALU_DEP_3)
	v_add_f64 v[96:97], v[96:97], v[94:95]
	v_fma_f64 v[94:95], v[144:145], s[20:21], v[156:157]
	v_add_f64 v[108:109], v[108:109], v[106:107]
	v_add_f64 v[106:107], v[112:113], v[110:111]
	v_fma_f64 v[110:111], v[54:55], s[36:37], v[182:183]
	v_fma_f64 v[112:113], v[56:57], s[4:5], v[184:185]
	v_add_f64 v[94:95], v[94:95], v[98:99]
	v_fma_f64 v[98:99], v[54:55], s[24:25], v[158:159]
	s_delay_alu instid0(VALU_DEP_4) | instskip(NEXT) | instid1(VALU_DEP_2)
	v_add_f64 v[110:111], v[50:51], v[110:111]
	v_add_f64 v[98:99], v[50:51], v[98:99]
	s_delay_alu instid0(VALU_DEP_2) | instskip(SKIP_1) | instid1(VALU_DEP_3)
	v_add_f64 v[110:111], v[112:113], v[110:111]
	v_fma_f64 v[112:113], v[58:59], s[34:35], v[186:187]
	v_add_f64 v[98:99], v[100:101], v[98:99]
	v_fma_f64 v[100:101], v[58:59], s[20:21], -v[162:163]
	s_delay_alu instid0(VALU_DEP_3) | instskip(NEXT) | instid1(VALU_DEP_2)
	v_add_f64 v[112:113], v[28:29], v[112:113]
	v_add_f64 v[100:101], v[28:29], v[100:101]
	s_delay_alu instid0(VALU_DEP_2) | instskip(NEXT) | instid1(VALU_DEP_2)
	v_add_f64 v[112:113], v[114:115], v[112:113]
	v_add_f64 v[100:101], v[102:103], v[100:101]
	v_fma_f64 v[102:103], v[64:65], s[18:19], v[166:167]
	s_delay_alu instid0(VALU_DEP_1) | instskip(SKIP_1) | instid1(VALU_DEP_1)
	v_add_f64 v[98:99], v[102:103], v[98:99]
	v_fma_f64 v[102:103], v[120:121], s[0:1], -v[168:169]
	v_add_f64 v[100:101], v[102:103], v[100:101]
	v_fma_f64 v[102:103], v[124:125], s[16:17], v[170:171]
	s_delay_alu instid0(VALU_DEP_1) | instskip(SKIP_1) | instid1(VALU_DEP_1)
	v_add_f64 v[98:99], v[102:103], v[98:99]
	v_fma_f64 v[102:103], v[128:129], s[12:13], -v[172:173]
	;; [unrolled: 5-line block ×4, first 2 shown]
	v_add_f64 v[98:99], v[98:99], v[102:103]
	v_fma_f64 v[102:103], v[54:55], s[40:41], v[182:183]
	s_delay_alu instid0(VALU_DEP_1) | instskip(NEXT) | instid1(VALU_DEP_1)
	v_add_f64 v[102:103], v[50:51], v[102:103]
	v_add_f64 v[102:103], v[104:105], v[102:103]
	v_fma_f64 v[104:105], v[58:59], s[34:35], -v[186:187]
	s_delay_alu instid0(VALU_DEP_1) | instskip(NEXT) | instid1(VALU_DEP_1)
	v_add_f64 v[104:105], v[28:29], v[104:105]
	v_add_f64 v[104:105], v[190:191], v[104:105]
	v_mul_f64 v[190:191], v[70:71], s[26:27]
	v_mul_f64 v[70:71], v[70:71], s[34:35]
	s_delay_alu instid0(VALU_DEP_2) | instskip(SKIP_1) | instid1(VALU_DEP_2)
	v_fma_f64 v[192:193], v[64:65], s[28:29], v[190:191]
	v_fma_f64 v[114:115], v[64:65], s[38:39], v[190:191]
	v_add_f64 v[102:103], v[192:193], v[102:103]
	v_mul_f64 v[192:193], v[118:119], s[28:29]
	s_delay_alu instid0(VALU_DEP_3) | instskip(SKIP_1) | instid1(VALU_DEP_3)
	v_add_f64 v[110:111], v[114:115], v[110:111]
	v_mul_f64 v[118:119], v[118:119], s[40:41]
	v_fma_f64 v[194:195], v[120:121], s[26:27], -v[192:193]
	v_fma_f64 v[114:115], v[120:121], s[26:27], v[192:193]
	s_delay_alu instid0(VALU_DEP_2) | instskip(SKIP_1) | instid1(VALU_DEP_3)
	v_add_f64 v[104:105], v[194:195], v[104:105]
	v_mul_f64 v[194:195], v[122:123], s[8:9]
	v_add_f64 v[112:113], v[114:115], v[112:113]
	v_mul_f64 v[122:123], v[122:123], s[26:27]
	s_delay_alu instid0(VALU_DEP_3) | instskip(SKIP_1) | instid1(VALU_DEP_2)
	v_fma_f64 v[196:197], v[124:125], s[14:15], v[194:195]
	v_fma_f64 v[114:115], v[124:125], s[10:11], v[194:195]
	v_add_f64 v[102:103], v[196:197], v[102:103]
	v_mul_f64 v[196:197], v[126:127], s[14:15]
	s_delay_alu instid0(VALU_DEP_3) | instskip(SKIP_1) | instid1(VALU_DEP_3)
	v_add_f64 v[110:111], v[114:115], v[110:111]
	v_mul_f64 v[126:127], v[126:127], s[38:39]
	v_fma_f64 v[198:199], v[128:129], s[8:9], -v[196:197]
	v_fma_f64 v[114:115], v[128:129], s[8:9], v[196:197]
	s_delay_alu instid0(VALU_DEP_2) | instskip(SKIP_1) | instid1(VALU_DEP_3)
	v_add_f64 v[104:105], v[198:199], v[104:105]
	v_mul_f64 v[198:199], v[130:131], s[20:21]
	v_add_f64 v[112:113], v[114:115], v[112:113]
	v_mul_f64 v[130:131], v[130:131], s[12:13]
	s_delay_alu instid0(VALU_DEP_3) | instskip(SKIP_1) | instid1(VALU_DEP_2)
	v_fma_f64 v[200:201], v[132:133], s[24:25], v[198:199]
	v_fma_f64 v[114:115], v[132:133], s[30:31], v[198:199]
	v_add_f64 v[102:103], v[200:201], v[102:103]
	v_mul_f64 v[200:201], v[134:135], s[24:25]
	s_delay_alu instid0(VALU_DEP_3) | instskip(SKIP_1) | instid1(VALU_DEP_3)
	v_add_f64 v[110:111], v[114:115], v[110:111]
	v_mul_f64 v[134:135], v[134:135], s[22:23]
	v_fma_f64 v[114:115], v[136:137], s[20:21], v[200:201]
	v_fma_f64 v[202:203], v[136:137], s[20:21], -v[200:201]
	s_delay_alu instid0(VALU_DEP_2) | instskip(SKIP_1) | instid1(VALU_DEP_3)
	v_add_f64 v[114:115], v[114:115], v[112:113]
	v_fma_f64 v[112:113], v[140:141], s[16:17], v[204:205]
	v_add_f64 v[202:203], v[202:203], v[104:105]
	v_fma_f64 v[104:105], v[140:141], s[22:23], v[204:205]
	s_delay_alu instid0(VALU_DEP_3)
	v_add_f64 v[112:113], v[112:113], v[110:111]
	v_add_f64 v[110:111], v[116:117], v[114:115]
	v_fma_f64 v[114:115], v[54:55], s[30:31], v[158:159]
	v_fma_f64 v[116:117], v[56:57], s[28:29], v[160:161]
	v_add_f64 v[104:105], v[104:105], v[102:103]
	v_fma_f64 v[102:103], v[144:145], s[12:13], -v[206:207]
	s_delay_alu instid0(VALU_DEP_4) | instskip(NEXT) | instid1(VALU_DEP_2)
	v_add_f64 v[114:115], v[50:51], v[114:115]
	v_add_f64 v[102:103], v[102:103], v[202:203]
	s_delay_alu instid0(VALU_DEP_2) | instskip(SKIP_1) | instid1(VALU_DEP_1)
	v_add_f64 v[114:115], v[116:117], v[114:115]
	v_fma_f64 v[116:117], v[58:59], s[20:21], v[162:163]
	v_add_f64 v[116:117], v[28:29], v[116:117]
	s_delay_alu instid0(VALU_DEP_1) | instskip(SKIP_1) | instid1(VALU_DEP_1)
	v_add_f64 v[116:117], v[146:147], v[116:117]
	v_fma_f64 v[146:147], v[64:65], s[4:5], v[166:167]
	v_add_f64 v[114:115], v[146:147], v[114:115]
	v_fma_f64 v[146:147], v[120:121], s[0:1], v[168:169]
	s_delay_alu instid0(VALU_DEP_1) | instskip(SKIP_1) | instid1(VALU_DEP_1)
	v_add_f64 v[116:117], v[146:147], v[116:117]
	v_fma_f64 v[146:147], v[124:125], s[22:23], v[170:171]
	v_add_f64 v[114:115], v[146:147], v[114:115]
	v_fma_f64 v[146:147], v[128:129], s[12:13], v[172:173]
	;; [unrolled: 5-line block ×3, first 2 shown]
	s_delay_alu instid0(VALU_DEP_1) | instskip(SKIP_1) | instid1(VALU_DEP_1)
	v_add_f64 v[146:147], v[146:147], v[116:117]
	v_fma_f64 v[116:117], v[140:141], s[10:11], v[178:179]
	v_add_f64 v[116:117], v[116:117], v[114:115]
	s_delay_alu instid0(VALU_DEP_3)
	v_add_f64 v[114:115], v[148:149], v[146:147]
	v_fma_f64 v[146:147], v[54:55], s[10:11], v[52:53]
	v_fma_f64 v[148:149], v[56:57], s[24:25], v[62:63]
	;; [unrolled: 1-line block ×6, first 2 shown]
	v_add_f64 v[146:147], v[50:51], v[146:147]
	v_add_f64 v[52:53], v[50:51], v[52:53]
	s_delay_alu instid0(VALU_DEP_2) | instskip(SKIP_1) | instid1(VALU_DEP_3)
	v_add_f64 v[146:147], v[148:149], v[146:147]
	v_mul_f64 v[148:149], v[66:67], s[10:11]
	v_add_f64 v[52:53], v[56:57], v[52:53]
	s_delay_alu instid0(VALU_DEP_2) | instskip(SKIP_1) | instid1(VALU_DEP_3)
	v_fma_f64 v[66:67], v[58:59], s[8:9], -v[148:149]
	v_fma_f64 v[58:59], v[58:59], s[8:9], v[148:149]
	v_add_f64 v[52:53], v[54:55], v[52:53]
	s_delay_alu instid0(VALU_DEP_3) | instskip(NEXT) | instid1(VALU_DEP_3)
	v_add_f64 v[66:67], v[28:29], v[66:67]
	v_add_f64 v[56:57], v[28:29], v[58:59]
	;; [unrolled: 1-line block ×3, first 2 shown]
	v_fma_f64 v[58:59], v[124:125], s[28:29], v[122:123]
	s_delay_alu instid0(VALU_DEP_4) | instskip(SKIP_1) | instid1(VALU_DEP_4)
	v_add_f64 v[66:67], v[68:69], v[66:67]
	v_fma_f64 v[68:69], v[64:65], s[40:41], v[70:71]
	v_add_f64 v[6:7], v[30:31], v[28:29]
	v_add_f64 v[56:57], v[60:61], v[56:57]
	v_fma_f64 v[60:61], v[128:129], s[26:27], v[126:127]
	v_add_f64 v[52:53], v[58:59], v[52:53]
	v_fma_f64 v[58:59], v[140:141], s[4:5], v[138:139]
	v_add_f64 v[68:69], v[68:69], v[146:147]
	v_add_f64 v[6:7], v[24:25], v[6:7]
	v_fma_f64 v[146:147], v[120:121], s[34:35], -v[118:119]
	v_add_f64 v[54:55], v[62:63], v[56:57]
	v_fma_f64 v[56:57], v[132:133], s[16:17], v[130:131]
	v_fma_f64 v[62:63], v[136:137], s[12:13], v[134:135]
	v_add_f64 v[6:7], v[46:47], v[6:7]
	v_add_f64 v[66:67], v[146:147], v[66:67]
	v_fma_f64 v[146:147], v[124:125], s[38:39], v[122:123]
	v_add_f64 v[54:55], v[60:61], v[54:55]
	v_fma_f64 v[60:61], v[144:145], s[0:1], v[142:143]
	v_add_f64 v[52:53], v[56:57], v[52:53]
	v_add_f64 v[6:7], v[38:39], v[6:7]
	;; [unrolled: 1-line block ×3, first 2 shown]
	v_fma_f64 v[146:147], v[128:129], s[26:27], -v[126:127]
	v_add_f64 v[56:57], v[62:63], v[54:55]
	v_add_f64 v[54:55], v[58:59], v[52:53]
	;; [unrolled: 1-line block ×3, first 2 shown]
	v_mul_lo_u32 v6, s3, v78
	v_mul_lo_u32 v7, s2, v79
	v_add_f64 v[66:67], v[146:147], v[66:67]
	v_fma_f64 v[146:147], v[132:133], s[22:23], v[130:131]
	v_add_f64 v[52:53], v[60:61], v[56:57]
	v_add_f64 v[2:3], v[8:9], v[4:5]
	v_mad_u64_u32 v[4:5], null, s2, v78, 0
	s_delay_alu instid0(VALU_DEP_4) | instskip(SKIP_1) | instid1(VALU_DEP_3)
	v_add_f64 v[68:69], v[146:147], v[68:69]
	v_fma_f64 v[146:147], v[136:137], s[12:13], -v[134:135]
	v_add3_u32 v5, v5, v7, v6
	s_delay_alu instid0(VALU_DEP_1) | instskip(NEXT) | instid1(VALU_DEP_1)
	v_lshlrev_b64 v[4:5], 4, v[4:5]
	v_add_co_u32 v6, vcc_lo, s6, v4
	s_delay_alu instid0(VALU_DEP_2) | instskip(SKIP_1) | instid1(VALU_DEP_1)
	v_add_co_ci_u32_e32 v7, vcc_lo, s7, v5, vcc_lo
	v_lshlrev_b64 v[4:5], 4, v[76:77]
	v_add_co_u32 v6, vcc_lo, v6, v4
	s_delay_alu instid0(VALU_DEP_2) | instskip(SKIP_2) | instid1(VALU_DEP_2)
	v_add_co_ci_u32_e32 v7, vcc_lo, v7, v5, vcc_lo
	v_lshlrev_b64 v[4:5], 4, v[80:81]
	v_add_f64 v[2:3], v[20:21], v[2:3]
	v_add_co_u32 v4, vcc_lo, v6, v4
	s_delay_alu instid0(VALU_DEP_3) | instskip(SKIP_2) | instid1(VALU_DEP_4)
	v_add_co_ci_u32_e32 v5, vcc_lo, v7, v5, vcc_lo
	v_add_f64 v[66:67], v[146:147], v[66:67]
	v_fma_f64 v[146:147], v[140:141], s[18:19], v[138:139]
	v_add_co_u32 v6, vcc_lo, 0x1000, v4
	s_clause 0x2
	global_store_b128 v[4:5], v[98:101], off offset:832
	global_store_b128 v[4:5], v[102:105], off offset:1248
	;; [unrolled: 1-line block ×3, first 2 shown]
	v_add_co_ci_u32_e32 v7, vcc_lo, 0, v5, vcc_lo
	v_add_f64 v[2:3], v[16:17], v[2:3]
	v_add_f64 v[68:69], v[146:147], v[68:69]
	v_fma_f64 v[146:147], v[144:145], s[0:1], -v[142:143]
	s_delay_alu instid0(VALU_DEP_3) | instskip(NEXT) | instid1(VALU_DEP_2)
	v_add_f64 v[2:3], v[26:27], v[2:3]
	v_add_f64 v[66:67], v[146:147], v[66:67]
	s_delay_alu instid0(VALU_DEP_2)
	v_add_f64 v[2:3], v[42:43], v[2:3]
	s_clause 0x9
	global_store_b128 v[4:5], v[90:93], off offset:2080
	global_store_b128 v[4:5], v[72:75], off offset:2496
	;; [unrolled: 1-line block ×8, first 2 shown]
	global_store_b128 v[4:5], v[0:3], off
	global_store_b128 v[6:7], v[52:55], off offset:896
.LBB0_23:
	s_nop 0
	s_sendmsg sendmsg(MSG_DEALLOC_VGPRS)
	s_endpgm
	.section	.rodata,"a",@progbits
	.p2align	6, 0x0
	.amdhsa_kernel fft_rtc_fwd_len338_factors_13_2_13_wgs_52_tpt_26_halfLds_dp_op_CI_CI_unitstride_sbrr_dirReg
		.amdhsa_group_segment_fixed_size 0
		.amdhsa_private_segment_fixed_size 0
		.amdhsa_kernarg_size 104
		.amdhsa_user_sgpr_count 15
		.amdhsa_user_sgpr_dispatch_ptr 0
		.amdhsa_user_sgpr_queue_ptr 0
		.amdhsa_user_sgpr_kernarg_segment_ptr 1
		.amdhsa_user_sgpr_dispatch_id 0
		.amdhsa_user_sgpr_private_segment_size 0
		.amdhsa_wavefront_size32 1
		.amdhsa_uses_dynamic_stack 0
		.amdhsa_enable_private_segment 0
		.amdhsa_system_sgpr_workgroup_id_x 1
		.amdhsa_system_sgpr_workgroup_id_y 0
		.amdhsa_system_sgpr_workgroup_id_z 0
		.amdhsa_system_sgpr_workgroup_info 0
		.amdhsa_system_vgpr_workitem_id 0
		.amdhsa_next_free_vgpr 208
		.amdhsa_next_free_sgpr 46
		.amdhsa_reserve_vcc 1
		.amdhsa_float_round_mode_32 0
		.amdhsa_float_round_mode_16_64 0
		.amdhsa_float_denorm_mode_32 3
		.amdhsa_float_denorm_mode_16_64 3
		.amdhsa_dx10_clamp 1
		.amdhsa_ieee_mode 1
		.amdhsa_fp16_overflow 0
		.amdhsa_workgroup_processor_mode 1
		.amdhsa_memory_ordered 1
		.amdhsa_forward_progress 0
		.amdhsa_shared_vgpr_count 0
		.amdhsa_exception_fp_ieee_invalid_op 0
		.amdhsa_exception_fp_denorm_src 0
		.amdhsa_exception_fp_ieee_div_zero 0
		.amdhsa_exception_fp_ieee_overflow 0
		.amdhsa_exception_fp_ieee_underflow 0
		.amdhsa_exception_fp_ieee_inexact 0
		.amdhsa_exception_int_div_zero 0
	.end_amdhsa_kernel
	.text
.Lfunc_end0:
	.size	fft_rtc_fwd_len338_factors_13_2_13_wgs_52_tpt_26_halfLds_dp_op_CI_CI_unitstride_sbrr_dirReg, .Lfunc_end0-fft_rtc_fwd_len338_factors_13_2_13_wgs_52_tpt_26_halfLds_dp_op_CI_CI_unitstride_sbrr_dirReg
                                        ; -- End function
	.section	.AMDGPU.csdata,"",@progbits
; Kernel info:
; codeLenInByte = 11936
; NumSgprs: 48
; NumVgprs: 208
; ScratchSize: 0
; MemoryBound: 1
; FloatMode: 240
; IeeeMode: 1
; LDSByteSize: 0 bytes/workgroup (compile time only)
; SGPRBlocks: 5
; VGPRBlocks: 25
; NumSGPRsForWavesPerEU: 48
; NumVGPRsForWavesPerEU: 208
; Occupancy: 7
; WaveLimiterHint : 1
; COMPUTE_PGM_RSRC2:SCRATCH_EN: 0
; COMPUTE_PGM_RSRC2:USER_SGPR: 15
; COMPUTE_PGM_RSRC2:TRAP_HANDLER: 0
; COMPUTE_PGM_RSRC2:TGID_X_EN: 1
; COMPUTE_PGM_RSRC2:TGID_Y_EN: 0
; COMPUTE_PGM_RSRC2:TGID_Z_EN: 0
; COMPUTE_PGM_RSRC2:TIDIG_COMP_CNT: 0
	.text
	.p2alignl 7, 3214868480
	.fill 96, 4, 3214868480
	.type	__hip_cuid_a388ca4ac5cf2e4c,@object ; @__hip_cuid_a388ca4ac5cf2e4c
	.section	.bss,"aw",@nobits
	.globl	__hip_cuid_a388ca4ac5cf2e4c
__hip_cuid_a388ca4ac5cf2e4c:
	.byte	0                               ; 0x0
	.size	__hip_cuid_a388ca4ac5cf2e4c, 1

	.ident	"AMD clang version 19.0.0git (https://github.com/RadeonOpenCompute/llvm-project roc-6.4.0 25133 c7fe45cf4b819c5991fe208aaa96edf142730f1d)"
	.section	".note.GNU-stack","",@progbits
	.addrsig
	.addrsig_sym __hip_cuid_a388ca4ac5cf2e4c
	.amdgpu_metadata
---
amdhsa.kernels:
  - .args:
      - .actual_access:  read_only
        .address_space:  global
        .offset:         0
        .size:           8
        .value_kind:     global_buffer
      - .offset:         8
        .size:           8
        .value_kind:     by_value
      - .actual_access:  read_only
        .address_space:  global
        .offset:         16
        .size:           8
        .value_kind:     global_buffer
      - .actual_access:  read_only
        .address_space:  global
        .offset:         24
        .size:           8
        .value_kind:     global_buffer
      - .actual_access:  read_only
        .address_space:  global
        .offset:         32
        .size:           8
        .value_kind:     global_buffer
      - .offset:         40
        .size:           8
        .value_kind:     by_value
      - .actual_access:  read_only
        .address_space:  global
        .offset:         48
        .size:           8
        .value_kind:     global_buffer
      - .actual_access:  read_only
        .address_space:  global
        .offset:         56
        .size:           8
        .value_kind:     global_buffer
      - .offset:         64
        .size:           4
        .value_kind:     by_value
      - .actual_access:  read_only
        .address_space:  global
        .offset:         72
        .size:           8
        .value_kind:     global_buffer
      - .actual_access:  read_only
        .address_space:  global
        .offset:         80
        .size:           8
        .value_kind:     global_buffer
      - .actual_access:  read_only
        .address_space:  global
        .offset:         88
        .size:           8
        .value_kind:     global_buffer
      - .actual_access:  write_only
        .address_space:  global
        .offset:         96
        .size:           8
        .value_kind:     global_buffer
    .group_segment_fixed_size: 0
    .kernarg_segment_align: 8
    .kernarg_segment_size: 104
    .language:       OpenCL C
    .language_version:
      - 2
      - 0
    .max_flat_workgroup_size: 52
    .name:           fft_rtc_fwd_len338_factors_13_2_13_wgs_52_tpt_26_halfLds_dp_op_CI_CI_unitstride_sbrr_dirReg
    .private_segment_fixed_size: 0
    .sgpr_count:     48
    .sgpr_spill_count: 0
    .symbol:         fft_rtc_fwd_len338_factors_13_2_13_wgs_52_tpt_26_halfLds_dp_op_CI_CI_unitstride_sbrr_dirReg.kd
    .uniform_work_group_size: 1
    .uses_dynamic_stack: false
    .vgpr_count:     208
    .vgpr_spill_count: 0
    .wavefront_size: 32
    .workgroup_processor_mode: 1
amdhsa.target:   amdgcn-amd-amdhsa--gfx1100
amdhsa.version:
  - 1
  - 2
...

	.end_amdgpu_metadata
